;; amdgpu-corpus repo=ROCm/aiter kind=harvested arch=n/a opt=n/a

/root/src/amdgpu-assembly/repos/ROCm__aiter/hsa/gfx942/fmoe/gelu/fmoe_int8_g1u0_subGU_384_gelu.co:	file format elf64-amdgpu

Disassembly of section .text:

0000000000002b00 <fmoe_int8_g1u0_subGU_384_gelu>:
	s_and_b32 s1, s1, 0xffff                                   // 000000002B00: 8601FF01 0000FFFF
	s_load_dwordx2 s[8:9], s[0:1], 0x0                         // 000000002B08: C0060200 00000000
	s_load_dwordx2 s[20:21], s[0:1], 0x10                      // 000000002B10: C0060500 00000010
	s_load_dwordx2 s[24:25], s[0:1], 0x20                      // 000000002B18: C0060600 00000020
	s_load_dwordx2 s[50:51], s[0:1], 0x30                      // 000000002B20: C0060C80 00000030
	s_load_dwordx2 s[12:13], s[0:1], 0x40                      // 000000002B28: C0060300 00000040
	s_load_dwordx2 s[28:29], s[0:1], 0x50                      // 000000002B30: C0060700 00000050
	s_load_dwordx2 s[32:33], s[0:1], 0x60                      // 000000002B38: C0060800 00000060
	s_load_dwordx2 s[16:17], s[0:1], 0x70                      // 000000002B40: C0060400 00000070
	s_load_dwordx2 s[36:37], s[0:1], 0x80                      // 000000002B48: C0060900 00000080
	s_load_dwordx2 s[44:45], s[0:1], 0x90                      // 000000002B50: C0060B00 00000090
	s_load_dwordx2 s[40:41], s[0:1], 0xa0                      // 000000002B58: C0060A00 000000A0
	s_load_dwordx2 s[46:47], s[0:1], 0xb0                      // 000000002B60: C0060B80 000000B0
	s_load_dword s64, s[0:1], 0xc0                             // 000000002B68: C0021000 000000C0
	s_load_dword s65, s[0:1], 0xd0                             // 000000002B70: C0021040 000000D0
	s_load_dword s66, s[0:1], 0xe0                             // 000000002B78: C0021080 000000E0
	s_load_dword s67, s[0:1], 0xf0                             // 000000002B80: C00210C0 000000F0
	s_load_dword s68, s[0:1], 0x100                            // 000000002B88: C0021100 00000100
	s_load_dword s69, s[0:1], 0x110                            // 000000002B90: C0021140 00000110
	s_load_dword s70, s[0:1], 0x120                            // 000000002B98: C0021180 00000120
	s_load_dword s71, s[0:1], 0x130                            // 000000002BA0: C00211C0 00000130
	s_load_dword s72, s[0:1], 0x140                            // 000000002BA8: C0021200 00000140
	s_load_dword s73, s[0:1], 0x150                            // 000000002BB0: C0021240 00000150
	s_load_dword s74, s[0:1], 0x160                            // 000000002BB8: C0021280 00000160
	s_load_dword s75, s[0:1], 0x170                            // 000000002BC0: C00212C0 00000170
	s_load_dword s76, s[0:1], 0x180                            // 000000002BC8: C0021300 00000180
	s_load_dword s63, s[0:1], 0x190                            // 000000002BD0: C0020FC0 00000190
	v_lshrrev_b32_e32 v1, 10, v0                               // 000000002BD8: 2002008A
	v_lshrrev_b32_e32 v2, 10, v1                               // 000000002BDC: 2004028A
	v_and_b32_e32 v2, 0x3ff, v2                                // 000000002BE0: 260404FF 000003FF
	v_and_b32_e32 v1, 0x3ff, v1                                // 000000002BE8: 260202FF 000003FF
	v_and_b32_e32 v0, 0x3ff, v0                                // 000000002BF0: 260000FF 000003FF
	v_lshrrev_b32_e32 v3, 6, v0                                // 000000002BF8: 20060086
	v_and_b32_e32 v0, 63, v0                                   // 000000002BFC: 260000BF
	s_mov_b32 s2, s2                                           // 000000002C00: BE820002
	s_mov_b32 s3, s3                                           // 000000002C04: BE830003
	s_mov_b32 s4, s4                                           // 000000002C08: BE840004
	v_readfirstlane_b32 s7, v3                                 // 000000002C0C: 7E0E0503
	s_waitcnt lgkmcnt(0)                                       // 000000002C10: BF8CC07F
	s_and_b32 s51, s51, 0xffff                                 // 000000002C14: 8633FF33 0000FFFF
	s_load_dword s50, s[50:51], 0x0                            // 000000002C1C: C0020C99 00000000
	s_and_b32 s45, s45, 0xffff                                 // 000000002C24: 862DFF2D 0000FFFF
	s_and_b32 s47, s47, 0xffff                                 // 000000002C2C: 862FFF2F 0000FFFF
	s_and_b32 s9, s9, 0xffff                                   // 000000002C34: 8609FF09 0000FFFF
	s_mul_i32 s60, s66, s68                                    // 000000002C3C: 923C4442
	s_mul_i32 s60, s63, s60                                    // 000000002C40: 923C3C3F
	s_mul_i32 s61, s66, 4                                      // 000000002C44: 923D8442
	s_mul_i32 s61, s63, s61                                    // 000000002C48: 923D3D3F
	s_mov_b32 s22, s60                                         // 000000002C4C: BE96003C
	s_mov_b32 s26, 0x80000000                                  // 000000002C50: BE9A00FF 80000000
	s_mov_b32 s14, 0x80000000                                  // 000000002C58: BE8E00FF 80000000
	s_mov_b32 s42, 0x80000000                                  // 000000002C60: BEAA00FF 80000000
	s_mov_b32 s30, s61                                         // 000000002C68: BE9E003D
	s_mov_b32 s34, 0x600                                       // 000000002C6C: BEA200FF 00000600
	s_mov_b32 s38, 0x600                                       // 000000002C74: BEA600FF 00000600
	s_mov_b32 s18, 0x80000000                                  // 000000002C7C: BE9200FF 80000000
	s_mov_b32 s23, 0x20000                                     // 000000002C84: BE9700FF 00020000
	s_mov_b32 s27, 0x20000                                     // 000000002C8C: BE9B00FF 00020000
	s_mov_b32 s15, 0x20000                                     // 000000002C94: BE8F00FF 00020000
	s_mov_b32 s43, 0x20000                                     // 000000002C9C: BEAB00FF 00020000
	s_mov_b32 s31, 0x20000                                     // 000000002CA4: BE9F00FF 00020000
	s_mov_b32 s35, 0x20000                                     // 000000002CAC: BEA300FF 00020000
	s_mov_b32 s39, 0x20000                                     // 000000002CB4: BEA700FF 00020000
	s_mov_b32 s19, 0x20000                                     // 000000002CBC: BE9300FF 00020000
	s_and_b32 s21, s21, 0xffff                                 // 000000002CC4: 8615FF15 0000FFFF
	s_and_b32 s25, s25, 0xffff                                 // 000000002CCC: 8619FF19 0000FFFF
	s_and_b32 s13, s13, 0xffff                                 // 000000002CD4: 860DFF0D 0000FFFF
	s_and_b32 s41, s41, 0xffff                                 // 000000002CDC: 8629FF29 0000FFFF
	s_and_b32 s29, s29, 0xffff                                 // 000000002CE4: 861DFF1D 0000FFFF
	s_and_b32 s33, s33, 0xffff                                 // 000000002CEC: 8621FF21 0000FFFF
	s_and_b32 s37, s37, 0xffff                                 // 000000002CF4: 8625FF25 0000FFFF
	s_and_b32 s17, s17, 0xffff                                 // 000000002CFC: 8611FF11 0000FFFF
	s_or_b32 s21, s21, 0x40000                                 // 000000002D04: 8715FF15 00040000
	s_or_b32 s25, s25, 0x40000                                 // 000000002D0C: 8719FF19 00040000
	s_or_b32 s13, s13, 0x40000                                 // 000000002D14: 870DFF0D 00040000
	s_or_b32 s41, s41, 0x40000                                 // 000000002D1C: 8729FF29 00040000
	s_or_b32 s29, s29, 0x40000                                 // 000000002D24: 871DFF1D 00040000
	s_or_b32 s33, s33, 0x40000                                 // 000000002D2C: 8721FF21 00040000
	s_or_b32 s37, s37, 0x40000                                 // 000000002D34: 8725FF25 00040000
	s_or_b32 s17, s17, 0x40000                                 // 000000002D3C: 8711FF11 00040000
	v_accvgpr_write_b32 a191, 0                                // 000000002D44: D3D940BF 18000080
	v_mov_b32_e32 v239, 0                                      // 000000002D4C: 7FDE0280
	s_waitcnt lgkmcnt(0)                                       // 000000002D50: BF8CC07F
	s_mul_i32 s60, s3, 32                                      // 000000002D54: 923CA003
	s_cmp_lt_i32 s60, s50                                      // 000000002D58: BF04323C
	s_cbranch_scc0 label_1D9F                                  // 000000002D5C: BF841D07
	s_mov_b32 s80, 0                                           // 000000002D60: BED00080
	s_mov_b32 s81, s64                                         // 000000002D64: BED10040
	s_mul_i32 s60, s3, 4                                       // 000000002D68: 923C8403
	s_add_u32 s46, s60, s46                                    // 000000002D6C: 802E2E3C
	s_addc_u32 s47, 0, s47                                     // 000000002D70: 822F2F80
	s_load_dword s5, s[46:47], 0x0                             // 000000002D74: C0020157 00000000
	s_mul_i32 s60, s3, 32                                      // 000000002D7C: 923CA003
	s_mul_i32 s60, 4, s60                                      // 000000002D80: 923C3C84
	v_and_b32_e32 v48, 15, v0                                  // 000000002D84: 2660008F
	v_lshlrev_b32_e32 v48, 2, v48                              // 000000002D88: 24606082
	v_add_u32_e32 v48, s60, v48                                // 000000002D8C: 6860603C
	v_mov_b32_e32 v49, 0                                       // 000000002D90: 7E620280
	global_load_dword v6, v48, s[44:45]                        // 000000002D94: DC508000 062C0030
	v_add_u32_e32 v48, 64, v48                                 // 000000002D9C: 686060C0
	global_load_dword v7, v48, s[44:45]                        // 000000002DA0: DC508000 072C0030
	s_mul_i32 s60, s3, 32                                      // 000000002DA8: 923CA003
	s_add_u32 s60, s7, s60                                     // 000000002DAC: 803C3C07
	s_mul_i32 s60, 4, s60                                      // 000000002DB0: 923C3C84
	s_add_u32 s44, s60, s44                                    // 000000002DB4: 802C2C3C
	s_addc_u32 s45, 0, s45                                     // 000000002DB8: 822D2D80
	s_load_dword s82, s[44:45], 0x0                            // 000000002DBC: C0021496 00000000
	s_load_dword s83, s[44:45], 0x10                           // 000000002DC4: C00214D6 00000010
	s_load_dword s84, s[44:45], 0x20                           // 000000002DCC: C0021516 00000020
	s_load_dword s85, s[44:45], 0x30                           // 000000002DD4: C0021556 00000030
	s_load_dword s86, s[44:45], 0x40                           // 000000002DDC: C0021596 00000040
	s_load_dword s87, s[44:45], 0x50                           // 000000002DE4: C00215D6 00000050
	s_load_dword s88, s[44:45], 0x60                           // 000000002DEC: C0021616 00000060
	s_load_dword s89, s[44:45], 0x70                           // 000000002DF4: C0021656 00000070
	s_waitcnt lgkmcnt(0)                                       // 000000002DFC: BF8CC07F
	v_lshlrev_b32_e32 v48, 2, v0                               // 000000002E00: 24600082
	s_lshr_b32 s61, s82, 24                                    // 000000002E04: 8F3D9852
	s_mul_i32 s61, s61, s68                                    // 000000002E08: 923D443D
	s_mul_i32 s61, s61, s66                                    // 000000002E0C: 923D423D
	s_and_b32 s82, s82, 0xffffff                               // 000000002E10: 8652FF52 00FFFFFF
	s_mul_i32 s60, s82, s68                                    // 000000002E18: 923C4452
	s_add_u32 s60, s61, s60                                    // 000000002E1C: 803C3C3D
	v_add_u32_e64 v26, v48, s60                                // 000000002E20: D134001A 00007930
	s_lshr_b32 s61, s83, 24                                    // 000000002E28: 8F3D9853
	s_mul_i32 s61, s61, s68                                    // 000000002E2C: 923D443D
	s_mul_i32 s61, s61, s66                                    // 000000002E30: 923D423D
	s_and_b32 s83, s83, 0xffffff                               // 000000002E34: 8653FF53 00FFFFFF
	s_mul_i32 s60, s83, s68                                    // 000000002E3C: 923C4453
	s_add_u32 s60, s61, s60                                    // 000000002E40: 803C3C3D
	v_add_u32_e64 v27, v48, s60                                // 000000002E44: D134001B 00007930
	s_lshr_b32 s61, s84, 24                                    // 000000002E4C: 8F3D9854
	s_mul_i32 s61, s61, s68                                    // 000000002E50: 923D443D
	s_mul_i32 s61, s61, s66                                    // 000000002E54: 923D423D
	s_and_b32 s84, s84, 0xffffff                               // 000000002E58: 8654FF54 00FFFFFF
	s_mul_i32 s60, s84, s68                                    // 000000002E60: 923C4454
	s_add_u32 s60, s61, s60                                    // 000000002E64: 803C3C3D
	v_add_u32_e64 v28, v48, s60                                // 000000002E68: D134001C 00007930
	s_lshr_b32 s61, s85, 24                                    // 000000002E70: 8F3D9855
	s_mul_i32 s61, s61, s68                                    // 000000002E74: 923D443D
	s_mul_i32 s61, s61, s66                                    // 000000002E78: 923D423D
	s_and_b32 s85, s85, 0xffffff                               // 000000002E7C: 8655FF55 00FFFFFF
	s_mul_i32 s60, s85, s68                                    // 000000002E84: 923C4455
	s_add_u32 s60, s61, s60                                    // 000000002E88: 803C3C3D
	v_add_u32_e64 v29, v48, s60                                // 000000002E8C: D134001D 00007930
	s_lshr_b32 s61, s86, 24                                    // 000000002E94: 8F3D9856
	s_mul_i32 s61, s61, s68                                    // 000000002E98: 923D443D
	s_mul_i32 s61, s61, s66                                    // 000000002E9C: 923D423D
	s_and_b32 s86, s86, 0xffffff                               // 000000002EA0: 8656FF56 00FFFFFF
	s_mul_i32 s60, s86, s68                                    // 000000002EA8: 923C4456
	s_add_u32 s60, s61, s60                                    // 000000002EAC: 803C3C3D
	v_add_u32_e64 v30, v48, s60                                // 000000002EB0: D134001E 00007930
	s_lshr_b32 s61, s87, 24                                    // 000000002EB8: 8F3D9857
	s_mul_i32 s61, s61, s68                                    // 000000002EBC: 923D443D
	s_mul_i32 s61, s61, s66                                    // 000000002EC0: 923D423D
	s_and_b32 s87, s87, 0xffffff                               // 000000002EC4: 8657FF57 00FFFFFF
	s_mul_i32 s60, s87, s68                                    // 000000002ECC: 923C4457
	s_add_u32 s60, s61, s60                                    // 000000002ED0: 803C3C3D
	v_add_u32_e64 v31, v48, s60                                // 000000002ED4: D134001F 00007930
	s_lshr_b32 s61, s88, 24                                    // 000000002EDC: 8F3D9858
	s_mul_i32 s61, s61, s68                                    // 000000002EE0: 923D443D
	s_mul_i32 s61, s61, s66                                    // 000000002EE4: 923D423D
	s_and_b32 s88, s88, 0xffffff                               // 000000002EE8: 8658FF58 00FFFFFF
	s_mul_i32 s60, s88, s68                                    // 000000002EF0: 923C4458
	s_add_u32 s60, s61, s60                                    // 000000002EF4: 803C3C3D
	v_add_u32_e64 v32, v48, s60                                // 000000002EF8: D1340020 00007930
	s_lshr_b32 s61, s89, 24                                    // 000000002F00: 8F3D9859
	s_mul_i32 s61, s61, s68                                    // 000000002F04: 923D443D
	s_mul_i32 s61, s61, s66                                    // 000000002F08: 923D423D
	s_and_b32 s89, s89, 0xffffff                               // 000000002F0C: 8659FF59 00FFFFFF
	s_mul_i32 s60, s89, s68                                    // 000000002F14: 923C4459
	s_add_u32 s60, s61, s60                                    // 000000002F18: 803C3C3D
	v_add_u32_e64 v33, v48, s60                                // 000000002F1C: D1340021 00007930
	v_lshlrev_b32_e32 v48, 2, v0                               // 000000002F24: 24600082
	s_mul_i32 s60, s82, s71                                    // 000000002F28: 923C4752
	v_add_u32_e64 v80, v48, s60                                // 000000002F2C: D1340050 00007930
	v_mov_b32_e32 v81, 0                                       // 000000002F34: 7EA20280
	s_mul_i32 s60, s83, s71                                    // 000000002F38: 923C4753
	v_add_u32_e64 v82, v48, s60                                // 000000002F3C: D1340052 00007930
	v_mov_b32_e32 v83, 0                                       // 000000002F44: 7EA60280
	s_mul_i32 s60, s84, s71                                    // 000000002F48: 923C4754
	v_add_u32_e64 v84, v48, s60                                // 000000002F4C: D1340054 00007930
	v_mov_b32_e32 v85, 0                                       // 000000002F54: 7EAA0280
	s_mul_i32 s60, s85, s71                                    // 000000002F58: 923C4755
	v_add_u32_e64 v86, v48, s60                                // 000000002F5C: D1340056 00007930
	v_mov_b32_e32 v87, 0                                       // 000000002F64: 7EAE0280
	s_mul_i32 s60, s86, s71                                    // 000000002F68: 923C4756
	v_add_u32_e64 v88, v48, s60                                // 000000002F6C: D1340058 00007930
	v_mov_b32_e32 v89, 0                                       // 000000002F74: 7EB20280
	s_mul_i32 s60, s87, s71                                    // 000000002F78: 923C4757
	v_add_u32_e64 v90, v48, s60                                // 000000002F7C: D134005A 00007930
	v_mov_b32_e32 v91, 0                                       // 000000002F84: 7EB60280
	s_mul_i32 s60, s88, s71                                    // 000000002F88: 923C4758
	v_add_u32_e64 v92, v48, s60                                // 000000002F8C: D134005C 00007930
	v_mov_b32_e32 v93, 0                                       // 000000002F94: 7EBA0280
	s_mul_i32 s60, s89, s71                                    // 000000002F98: 923C4759
	v_add_u32_e64 v94, v48, s60                                // 000000002F9C: D134005E 00007930
	v_mov_b32_e32 v95, 0                                       // 000000002FA4: 7EBE0280
	s_mul_i32 s60, s7, 0x820                                   // 000000002FA8: 923CFF07 00000820
	s_add_u32 s50, 0, s60                                      // 000000002FB0: 80323C80
	s_add_u32 s51, 0x2080, s50                                 // 000000002FB4: 803332FF 00002080
	v_lshrrev_b32_e32 v48, 4, v0                               // 000000002FBC: 20600084
	v_lshlrev_b32_e32 v49, 2, v48                              // 000000002FC0: 24626082
	v_and_b32_e32 v48, 15, v0                                  // 000000002FC4: 2660008F
	v_lshrrev_b32_e32 v50, 2, v48                              // 000000002FC8: 20646082
	v_lshlrev_b32_e32 v50, 6, v50                              // 000000002FCC: 24646486
	v_add_u32_e32 v49, v50, v49                                // 000000002FD0: 68626332
	v_and_b32_e32 v48, 3, v0                                   // 000000002FD4: 26600083
	v_mul_i32_i24_e32 v50, 0x208, v48                          // 000000002FD8: 0C6460FF 00000208
	v_add_u32_e32 v49, v50, v49                                // 000000002FE0: 68626332
	v_lshlrev_b32_e32 v2, 2, v49                               // 000000002FE4: 24046282
	s_mul_i32 s60, s2, 0x180                                   // 000000002FE8: 923CFF02 00000180
	s_mul_i32 s60, s60, s69                                    // 000000002FF0: 923C453C
	s_mul_i32 s61, s5, s72                                     // 000000002FF4: 923D4805
	s_add_u32 s60, s61, s60                                    // 000000002FF8: 803C3C3D
	s_add_u32 s24, s60, s24                                    // 000000002FFC: 8018183C
	s_addc_u32 s25, 0, s25                                     // 000000003000: 82191980
	s_mul_i32 s60, s7, 16                                      // 000000003004: 923C9007
	s_mul_i32 s60, s60, s69                                    // 000000003008: 923C453C
	v_lshlrev_b32_e32 v34, 4, v0                               // 00000000300C: 24440084
	v_add_u32_e32 v34, s60, v34                                // 000000003010: 6844443C
	s_mul_i32 s60, 64, s69                                     // 000000003014: 923C45C0
	v_add_u32_e32 v35, s60, v34                                // 000000003018: 6846443C
	v_add_u32_e32 v36, s60, v35                                // 00000000301C: 6848463C
	v_add_u32_e32 v37, s60, v36                                // 000000003020: 684A483C
	v_add_u32_e32 v38, s60, v37                                // 000000003024: 684C4A3C
	v_add_u32_e32 v39, s60, v38                                // 000000003028: 684E4C3C
	s_mul_i32 s60, s2, 0x1800                                  // 00000000302C: 923CFF02 00001800
	s_mul_i32 s61, s5, s73                                     // 000000003034: 923D4905
	s_add_u32 s60, s61, s60                                    // 000000003038: 803C3C3D
	s_add_u32 s12, s60, s12                                    // 00000000303C: 800C0C3C
	s_addc_u32 s13, 0, s13                                     // 000000003040: 820D0D80
	s_mul_i32 s60, s7, 16                                      // 000000003044: 923C9007
	s_mul_i32 s60, s60, s70                                    // 000000003048: 923C463C
	v_lshlrev_b32_e32 v40, 4, v0                               // 00000000304C: 24500084
	v_add_u32_e32 v40, s60, v40                                // 000000003050: 6850503C
	s_mul_i32 s60, 64, s70                                     // 000000003054: 923C46C0
	v_add_u32_e32 v41, s60, v40                                // 000000003058: 6852503C
	v_add_u32_e32 v42, s60, v41                                // 00000000305C: 6854523C
	v_add_u32_e32 v43, s60, v42                                // 000000003060: 6856543C
	s_mul_i32 s60, s3, 32                                      // 000000003064: 923CA003
	s_mul_i32 s60, 4, s60                                      // 000000003068: 923C3C84
	s_add_u32 s40, s60, s40                                    // 00000000306C: 8028283C
	s_addc_u32 s41, 0, s41                                     // 000000003070: 82292980
	v_and_b32_e32 v48, 15, v0                                  // 000000003074: 2660008F
	v_lshlrev_b32_e32 v8, 2, v48                               // 000000003078: 24106082
	v_add_u32_e32 v9, 64, v8                                   // 00000000307C: 681210C0
	v_lshrrev_b32_e32 v48, 4, v0                               // 000000003080: 20600084
	v_lshlrev_b32_e32 v49, 2, v48                              // 000000003084: 24626082
	v_and_b32_e32 v48, 15, v0                                  // 000000003088: 2660008F
	v_lshrrev_b32_e32 v50, 2, v48                              // 00000000308C: 20646082
	v_lshlrev_b32_e32 v50, 6, v50                              // 000000003090: 24646486
	v_add_u32_e32 v49, v50, v49                                // 000000003094: 68626332
	v_and_b32_e32 v48, 3, v0                                   // 000000003098: 26600083
	v_add_u32_e32 v49, v48, v49                                // 00000000309C: 68626330
	v_lshlrev_b32_e32 v10, 2, v49                              // 0000000030A0: 24146282
	v_add_u32_e32 v11, 0x400, v10                              // 0000000030A4: 681614FF 00000400
	s_mul_i32 s60, s7, 16                                      // 0000000030AC: 923C9007
	s_mul_i32 s60, s60, 4                                      // 0000000030B0: 923C843C
	v_add_u32_e32 v10, s60, v10                                // 0000000030B4: 6814143C
	v_add_u32_e32 v11, s60, v11                                // 0000000030B8: 6816163C
	v_mov_b32_e32 v5, v10                                      // 0000000030BC: 7E0A030A
	s_mul_i32 s60, s2, 0x180                                   // 0000000030C0: 923CFF02 00000180
	s_mul_i32 s60, s60, 4                                      // 0000000030C8: 923C843C
	s_mul_i32 s61, s5, s74                                     // 0000000030CC: 923D4A05
	s_add_u32 s61, s61, s60                                    // 0000000030D0: 803D3C3D
	s_mul_i32 s62, s5, s76                                     // 0000000030D4: 923E4C05
	s_add_u32 s62, s62, s60                                    // 0000000030D8: 803E3C3E
	s_add_u32 s32, s61, s32                                    // 0000000030DC: 8020203D
	s_addc_u32 s33, 0, s33                                     // 0000000030E0: 82212180
	s_add_u32 s36, s62, s36                                    // 0000000030E4: 8024243E
	s_addc_u32 s37, 0, s37                                     // 0000000030E8: 82252580
	s_mul_i32 s60, s5, s75                                     // 0000000030EC: 923C4B05
	s_add_u32 s16, s60, s16                                    // 0000000030F0: 8010103C
	s_addc_u32 s17, 0, s17                                     // 0000000030F4: 82111180
	s_mov_b32 s57, 0x100                                       // 0000000030F8: BEB900FF 00000100
	s_mov_b32 s58, 0x1000                                      // 000000003100: BEBA00FF 00001000
	s_mov_b32 s79, 0x400                                       // 000000003108: BECF00FF 00000400
	s_mov_b32 s59, 0x200                                       // 000000003110: BEBB00FF 00000200
	s_mul_i32 s60, s70, 0x100                                  // 000000003118: 923CFF46 00000100
	s_mov_b32 s78, 0x400                                       // 000000003120: BECE00FF 00000400
	s_mul_i32 s61, s78, 5                                      // 000000003128: 923D854E
	s_sub_u32 s56, s60, s61                                    // 00000000312C: 80B83D3C
	s_mov_b32 s52, 0x7060302                                   // 000000003130: BEB400FF 07060302
	s_mov_b32 s53, 0x400                                       // 000000003138: BEB500FF 00000400
	s_mov_b32 s54, 0x40100                                     // 000000003140: BEB600FF 00040100
	s_mov_b32 s55, 0x4020100                                   // 000000003148: BEB700FF 04020100
	s_mov_b32 s6, 0x3fb8aa3b                                   // 000000003150: BE8600FF 3FB8AA3B
	s_mov_b32 s77, 0xbd92220c                                  // 000000003158: BECD00FF BD92220C
	s_mov_b32 m0, s50                                          // 000000003160: BEFC0032
	v_mov_b32_e32 v1, 0xbfcc4231                               // 000000003164: 7E0202FF BFCC4231
	v_mov_b32_e32 v45, 0xffff0000                              // 00000000316C: 7E5A02FF FFFF0000
	v_mov_b32_e32 v46, 0x7fff0000                              // 000000003174: 7E5C02FF 7FFF0000
	v_mov_b32_e32 v47, 0x7fff                                  // 00000000317C: 7E5E02FF 00007FFF
	s_waitcnt vmcnt(0) expcnt(0) lgkmcnt(0)                    // 000000003184: BF8C0000
	v_lshrrev_b32_e32 v48, 24, v6                              // 000000003188: 20600C98
	v_mul_i32_i24_e32 v48, s66, v48                            // 00000000318C: 0C606042
	v_and_b32_e32 v49, 0xffffff, v6                            // 000000003190: 26620CFF 00FFFFFF
	v_add_u32_e32 v6, v48, v49                                 // 000000003198: 680C6330
	v_lshrrev_b32_e32 v48, 24, v7                              // 00000000319C: 20600E98
	v_mul_i32_i24_e32 v48, s66, v48                            // 0000000031A0: 0C606042
	v_and_b32_e32 v49, 0xffffff, v7                            // 0000000031A4: 26620EFF 00FFFFFF
	v_add_u32_e32 v7, v48, v49                                 // 0000000031AC: 680E6330
	v_lshlrev_b32_e32 v6, 2, v6                                // 0000000031B0: 240C0C82
	v_lshlrev_b32_e32 v7, 2, v7                                // 0000000031B4: 240E0E82
	buffer_load_dword v14, v6, s[28:31], 0 offen               // 0000000031B8: E0501000 80070E06
	buffer_load_dword v15, v7, s[28:31], 0 offen               // 0000000031C0: E0501000 80070F07
	buffer_load_dword v16, v10, s[32:35], 0 offen              // 0000000031C8: E0501000 8008100A
	buffer_load_dword v17, v11, s[32:35], 0 offen              // 0000000031D0: E0501000 8008110B
	buffer_load_dword v18, v10, s[36:39], 0 offen              // 0000000031D8: E0501000 8009120A
	buffer_load_dword v19, v11, s[36:39], 0 offen              // 0000000031E0: E0501000 8009130B
	buffer_load_dword v20, v8, s[40:43], 0 offen               // 0000000031E8: E0501000 800A1408
	buffer_load_dword v21, v9, s[40:43], 0 offen               // 0000000031F0: E0501000 800A1509
	buffer_load_dword v26, s[20:23], 0 offen lds               // 0000000031F8: E0511000 8005001A
	s_add_u32 m0, 0x100, s50                                   // 000000003200: 807C32FF 00000100
	buffer_load_dword v27, s[20:23], 0 offen lds               // 000000003208: E0511000 8005001B
	s_add_u32 m0, 0x200, s50                                   // 000000003210: 807C32FF 00000200
	buffer_load_dword v28, s[20:23], 0 offen lds               // 000000003218: E0511000 8005001C
	s_add_u32 m0, 0x300, s50                                   // 000000003220: 807C32FF 00000300
	buffer_load_dword v29, s[20:23], 0 offen lds               // 000000003228: E0511000 8005001D
	s_add_u32 m0, 0x400, s50                                   // 000000003230: 807C32FF 00000400
	buffer_load_dword v30, s[20:23], 0 offen lds               // 000000003238: E0511000 8005001E
	s_add_u32 m0, 0x500, s50                                   // 000000003240: 807C32FF 00000500
	buffer_load_dword v31, s[20:23], 0 offen lds               // 000000003248: E0511000 8005001F
	s_add_u32 m0, 0x600, s50                                   // 000000003250: 807C32FF 00000600
	buffer_load_dword v32, s[20:23], 0 offen lds               // 000000003258: E0511000 80050020
	s_add_u32 m0, 0x700, s50                                   // 000000003260: 807C32FF 00000700
	buffer_load_dword v33, s[20:23], 0 offen lds               // 000000003268: E0511000 80050021
	s_add_u32 m0, 0, s51                                       // 000000003270: 807C3380
	s_add_u32 s20, s57, s20                                    // 000000003274: 80141439
	s_addc_u32 s21, 0, s21                                     // 000000003278: 82151580
	buffer_load_dword v26, s[20:23], 0 offen lds               // 00000000327C: E0511000 8005001A
	s_add_u32 m0, 0x100, s51                                   // 000000003284: 807C33FF 00000100
	buffer_load_dword v27, s[20:23], 0 offen lds               // 00000000328C: E0511000 8005001B
	s_add_u32 m0, 0x200, s51                                   // 000000003294: 807C33FF 00000200
	buffer_load_dword v28, s[20:23], 0 offen lds               // 00000000329C: E0511000 8005001C
	s_add_u32 m0, 0x300, s51                                   // 0000000032A4: 807C33FF 00000300
	buffer_load_dword v29, s[20:23], 0 offen lds               // 0000000032AC: E0511000 8005001D
	s_add_u32 m0, 0x400, s51                                   // 0000000032B4: 807C33FF 00000400
	buffer_load_dword v30, s[20:23], 0 offen lds               // 0000000032BC: E0511000 8005001E
	s_add_u32 m0, 0x500, s51                                   // 0000000032C4: 807C33FF 00000500
	buffer_load_dword v31, s[20:23], 0 offen lds               // 0000000032CC: E0511000 8005001F
	s_add_u32 m0, 0x600, s51                                   // 0000000032D4: 807C33FF 00000600
	buffer_load_dword v32, s[20:23], 0 offen lds               // 0000000032DC: E0511000 80050020
	s_add_u32 m0, 0x700, s51                                   // 0000000032E4: 807C33FF 00000700
	buffer_load_dword v33, s[20:23], 0 offen lds               // 0000000032EC: E0511000 80050021
	s_add_u32 m0, 0, s50                                       // 0000000032F4: 807C3280
	s_add_u32 s20, s57, s20                                    // 0000000032F8: 80141439
	s_addc_u32 s21, 0, s21                                     // 0000000032FC: 82151580
	buffer_load_dwordx4 a[0:3], v34, s[24:27], 0 offen         // 000000003300: E05C1000 80860022
	buffer_load_dwordx4 a[4:7], v34, s[24:27], 0 offen offset:1024// 000000003308: E05C1400 80860422
	buffer_load_dwordx4 a[8:11], v34, s[24:27], 0 offen offset:2048// 000000003310: E05C1800 80860822
	buffer_load_dwordx4 a[12:15], v34, s[24:27], 0 offen offset:3072// 000000003318: E05C1C00 80860C22
	buffer_load_dwordx4 a[16:19], v35, s[24:27], 0 offen       // 000000003320: E05C1000 80861023
	buffer_load_dwordx4 a[20:23], v35, s[24:27], 0 offen offset:1024// 000000003328: E05C1400 80861423
	buffer_load_dwordx4 a[24:27], v35, s[24:27], 0 offen offset:2048// 000000003330: E05C1800 80861823
	buffer_load_dwordx4 a[28:31], v35, s[24:27], 0 offen offset:3072// 000000003338: E05C1C00 80861C23
	buffer_load_dwordx4 a[32:35], v36, s[24:27], 0 offen       // 000000003340: E05C1000 80862024
	buffer_load_dwordx4 a[36:39], v36, s[24:27], 0 offen offset:1024// 000000003348: E05C1400 80862424
	buffer_load_dwordx4 a[40:43], v36, s[24:27], 0 offen offset:2048// 000000003350: E05C1800 80862824
	buffer_load_dwordx4 a[44:47], v36, s[24:27], 0 offen offset:3072// 000000003358: E05C1C00 80862C24
	buffer_load_dwordx4 a[48:51], v37, s[24:27], 0 offen       // 000000003360: E05C1000 80863025
	buffer_load_dwordx4 a[52:55], v37, s[24:27], 0 offen offset:1024// 000000003368: E05C1400 80863425
	buffer_load_dwordx4 a[56:59], v37, s[24:27], 0 offen offset:2048// 000000003370: E05C1800 80863825
	buffer_load_dwordx4 a[60:63], v37, s[24:27], 0 offen offset:3072// 000000003378: E05C1C00 80863C25
	buffer_load_dwordx4 a[64:67], v38, s[24:27], 0 offen       // 000000003380: E05C1000 80864026
	buffer_load_dwordx4 a[68:71], v38, s[24:27], 0 offen offset:1024// 000000003388: E05C1400 80864426
	buffer_load_dwordx4 a[72:75], v38, s[24:27], 0 offen offset:2048// 000000003390: E05C1800 80864826
	buffer_load_dwordx4 a[76:79], v38, s[24:27], 0 offen offset:3072// 000000003398: E05C1C00 80864C26
	buffer_load_dwordx4 a[80:83], v39, s[24:27], 0 offen       // 0000000033A0: E05C1000 80865027
	buffer_load_dwordx4 a[84:87], v39, s[24:27], 0 offen offset:1024// 0000000033A8: E05C1400 80865427
	buffer_load_dwordx4 a[88:91], v39, s[24:27], 0 offen offset:2048// 0000000033B0: E05C1800 80865827
	buffer_load_dwordx4 a[92:95], v39, s[24:27], 0 offen offset:3072// 0000000033B8: E05C1C00 80865C27
	s_add_u32 s24, s58, s24                                    // 0000000033C0: 8018183A
	s_addc_u32 s25, 0, s25                                     // 0000000033C4: 82191980
	v_mov_b32_e32 v128, 0                                      // 0000000033C8: 7F000280
	v_mov_b32_e32 v129, 0                                      // 0000000033CC: 7F020280
	v_mov_b32_e32 v130, 0                                      // 0000000033D0: 7F040280
	v_mov_b32_e32 v131, 0                                      // 0000000033D4: 7F060280
	v_mov_b32_e32 v132, 0                                      // 0000000033D8: 7F080280
	v_mov_b32_e32 v133, 0                                      // 0000000033DC: 7F0A0280
	v_mov_b32_e32 v134, 0                                      // 0000000033E0: 7F0C0280
	v_mov_b32_e32 v135, 0                                      // 0000000033E4: 7F0E0280
	v_mov_b32_e32 v136, 0                                      // 0000000033E8: 7F100280
	v_mov_b32_e32 v137, 0                                      // 0000000033EC: 7F120280
	v_mov_b32_e32 v138, 0                                      // 0000000033F0: 7F140280
	v_mov_b32_e32 v139, 0                                      // 0000000033F4: 7F160280
	v_mov_b32_e32 v140, 0                                      // 0000000033F8: 7F180280
	v_mov_b32_e32 v141, 0                                      // 0000000033FC: 7F1A0280
	v_mov_b32_e32 v142, 0                                      // 000000003400: 7F1C0280
	v_mov_b32_e32 v143, 0                                      // 000000003404: 7F1E0280
	v_mov_b32_e32 v144, 0                                      // 000000003408: 7F200280
	v_mov_b32_e32 v145, 0                                      // 00000000340C: 7F220280
	v_mov_b32_e32 v146, 0                                      // 000000003410: 7F240280
	v_mov_b32_e32 v147, 0                                      // 000000003414: 7F260280
	v_mov_b32_e32 v148, 0                                      // 000000003418: 7F280280
	v_mov_b32_e32 v149, 0                                      // 00000000341C: 7F2A0280
	v_mov_b32_e32 v150, 0                                      // 000000003420: 7F2C0280
	v_mov_b32_e32 v151, 0                                      // 000000003424: 7F2E0280
	v_mov_b32_e32 v152, 0                                      // 000000003428: 7F300280
	v_mov_b32_e32 v153, 0                                      // 00000000342C: 7F320280
	v_mov_b32_e32 v154, 0                                      // 000000003430: 7F340280
	v_mov_b32_e32 v155, 0                                      // 000000003434: 7F360280
	v_mov_b32_e32 v156, 0                                      // 000000003438: 7F380280
	v_mov_b32_e32 v157, 0                                      // 00000000343C: 7F3A0280
	v_mov_b32_e32 v158, 0                                      // 000000003440: 7F3C0280
	v_mov_b32_e32 v159, 0                                      // 000000003444: 7F3E0280
	v_mov_b32_e32 v160, 0                                      // 000000003448: 7F400280
	v_mov_b32_e32 v161, 0                                      // 00000000344C: 7F420280
	v_mov_b32_e32 v162, 0                                      // 000000003450: 7F440280
	v_mov_b32_e32 v163, 0                                      // 000000003454: 7F460280
	v_mov_b32_e32 v164, 0                                      // 000000003458: 7F480280
	v_mov_b32_e32 v165, 0                                      // 00000000345C: 7F4A0280
	v_mov_b32_e32 v166, 0                                      // 000000003460: 7F4C0280
	v_mov_b32_e32 v167, 0                                      // 000000003464: 7F4E0280
	v_mov_b32_e32 v168, 0                                      // 000000003468: 7F500280
	v_mov_b32_e32 v169, 0                                      // 00000000346C: 7F520280
	v_mov_b32_e32 v170, 0                                      // 000000003470: 7F540280
	v_mov_b32_e32 v171, 0                                      // 000000003474: 7F560280
	v_mov_b32_e32 v172, 0                                      // 000000003478: 7F580280
	v_mov_b32_e32 v173, 0                                      // 00000000347C: 7F5A0280
	v_mov_b32_e32 v174, 0                                      // 000000003480: 7F5C0280
	v_mov_b32_e32 v175, 0                                      // 000000003484: 7F5E0280
	v_lshrrev_b32_e32 v48, 4, v0                               // 000000003488: 20600084
	v_mul_i32_i24_e32 v3, 34, v48                              // 00000000348C: 0C0660A2
	v_and_b32_e32 v48, 15, v0                                  // 000000003490: 2660008F
	v_mul_i32_i24_e32 v49, 2, v48                              // 000000003494: 0C626082
	v_add_u32_e32 v3, v49, v3                                  // 000000003498: 68060731
	s_mul_i32 s60, s7, 0x88                                    // 00000000349C: 923CFF07 00000088
	v_add_u32_e32 v3, s60, v3                                  // 0000000034A4: 6806063C
	v_lshlrev_b32_e32 v3, 2, v3                                // 0000000034A8: 24060682
	v_lshrrev_b32_e32 v48, 1, v0                               // 0000000034AC: 20600081
	v_mul_i32_i24_e32 v4, 34, v48                              // 0000000034B0: 0C0860A2
	v_and_b32_e32 v49, 1, v0                                   // 0000000034B4: 26620081
	v_add_u32_e32 v4, v49, v4                                  // 0000000034B8: 68080931
	s_mul_i32 s60, s7, 2                                       // 0000000034BC: 923C8207
	v_add_u32_e32 v4, s60, v4                                  // 0000000034C0: 6808083C
	v_lshlrev_b32_e32 v4, 2, v4                                // 0000000034C4: 24080882
	s_waitcnt vmcnt(32)                                        // 0000000034C8: BF8C8F70
	s_barrier                                                  // 0000000034CC: BF8A0000
	ds_read_b128 v[176:179], v2                                // 0000000034D0: D9FE0000 B0000002
	ds_read_b128 v[180:183], v2 offset:64                      // 0000000034D8: D9FE0040 B4000002
	ds_read_b128 v[184:187], v2 offset:128                     // 0000000034E0: D9FE0080 B8000002
	ds_read_b128 v[188:191], v2 offset:192                     // 0000000034E8: D9FE00C0 BC000002
	ds_read_b128 v[192:195], v2 offset:1024                    // 0000000034F0: D9FE0400 C0000002
	ds_read_b128 v[196:199], v2 offset:1088                    // 0000000034F8: D9FE0440 C4000002
	ds_read_b128 v[200:203], v2 offset:1152                    // 000000003500: D9FE0480 C8000002
	ds_read_b128 v[204:207], v2 offset:1216                    // 000000003508: D9FE04C0 CC000002
	s_cmp_lt_i32 s7, 2                                         // 000000003510: BF048207
	s_cbranch_scc0 label_1014                                  // 000000003514: BF840D8E

0000000000003518 <label_0286>:
	s_waitcnt vmcnt(16) lgkmcnt(0)                             // 000000003518: BF8C4070
	s_barrier                                                  // 00000000351C: BF8A0000
	v_mfma_i32_16x16x32_i8 v[128:131], a[0:1], v[176:177], v[128:131]// 000000003520: D3D70080 0E036100
	v_mfma_i32_16x16x32_i8 v[128:131], a[2:3], v[178:179], v[128:131]// 000000003528: D3D70080 0E036502
	buffer_load_dwordx4 a[96:99], v34, s[24:27], 0 offen       // 000000003530: E05C1000 80866022
	v_mfma_i32_16x16x32_i8 v[128:131], a[4:5], v[180:181], v[128:131]// 000000003538: D3D70080 0E036904
	v_mfma_i32_16x16x32_i8 v[128:131], a[6:7], v[182:183], v[128:131]// 000000003540: D3D70080 0E036D06
	buffer_load_dword v26, s[20:23], 0 offen lds               // 000000003548: E0511000 8005001A
	s_add_u32 m0, 0x100, s50                                   // 000000003550: 807C32FF 00000100
	v_mfma_i32_16x16x32_i8 v[128:131], a[8:9], v[184:185], v[128:131]// 000000003558: D3D70080 0E037108
	v_mfma_i32_16x16x32_i8 v[128:131], a[10:11], v[186:187], v[128:131]// 000000003560: D3D70080 0E03750A
	buffer_load_dwordx4 a[100:103], v34, s[24:27], 0 offen offset:1024// 000000003568: E05C1400 80866422
	v_mfma_i32_16x16x32_i8 v[128:131], a[12:13], v[188:189], v[128:131]// 000000003570: D3D70080 0E03790C
	v_mfma_i32_16x16x32_i8 v[128:131], a[14:15], v[190:191], v[128:131]// 000000003578: D3D70080 0E037D0E
	buffer_load_dword v27, s[20:23], 0 offen lds               // 000000003580: E0511000 8005001B
	s_add_u32 m0, 0x200, s50                                   // 000000003588: 807C32FF 00000200
	v_mfma_i32_16x16x32_i8 v[132:135], a[0:1], v[192:193], v[132:135]// 000000003590: D3D70084 0E138100
	v_mfma_i32_16x16x32_i8 v[132:135], a[2:3], v[194:195], v[132:135]// 000000003598: D3D70084 0E138502
	buffer_load_dwordx4 a[104:107], v34, s[24:27], 0 offen offset:2048// 0000000035A0: E05C1800 80866822
	v_mfma_i32_16x16x32_i8 v[132:135], a[4:5], v[196:197], v[132:135]// 0000000035A8: D3D70084 0E138904
	v_mfma_i32_16x16x32_i8 v[132:135], a[6:7], v[198:199], v[132:135]// 0000000035B0: D3D70084 0E138D06
	buffer_load_dword v28, s[20:23], 0 offen lds               // 0000000035B8: E0511000 8005001C
	s_add_u32 m0, 0x300, s50                                   // 0000000035C0: 807C32FF 00000300
	v_mfma_i32_16x16x32_i8 v[132:135], a[8:9], v[200:201], v[132:135]// 0000000035C8: D3D70084 0E139108
	v_mfma_i32_16x16x32_i8 v[132:135], a[10:11], v[202:203], v[132:135]// 0000000035D0: D3D70084 0E13950A
	buffer_load_dwordx4 a[108:111], v34, s[24:27], 0 offen offset:3072// 0000000035D8: E05C1C00 80866C22
	v_mfma_i32_16x16x32_i8 v[132:135], a[12:13], v[204:205], v[132:135]// 0000000035E0: D3D70084 0E13990C
	v_mfma_i32_16x16x32_i8 v[132:135], a[14:15], v[206:207], v[132:135]// 0000000035E8: D3D70084 0E139D0E
	buffer_load_dword v29, s[20:23], 0 offen lds               // 0000000035F0: E0511000 8005001D
	s_add_u32 m0, 0x400, s50                                   // 0000000035F8: 807C32FF 00000400
	v_mfma_i32_16x16x32_i8 v[136:139], a[16:17], v[176:177], v[136:139]// 000000003600: D3D70088 0E236110
	v_mfma_i32_16x16x32_i8 v[136:139], a[18:19], v[178:179], v[136:139]// 000000003608: D3D70088 0E236512
	buffer_load_dwordx4 a[112:115], v35, s[24:27], 0 offen     // 000000003610: E05C1000 80867023
	v_mfma_i32_16x16x32_i8 v[136:139], a[20:21], v[180:181], v[136:139]// 000000003618: D3D70088 0E236914
	v_mfma_i32_16x16x32_i8 v[136:139], a[22:23], v[182:183], v[136:139]// 000000003620: D3D70088 0E236D16
	buffer_load_dword v30, s[20:23], 0 offen lds               // 000000003628: E0511000 8005001E
	s_add_u32 m0, 0x500, s50                                   // 000000003630: 807C32FF 00000500
	v_mfma_i32_16x16x32_i8 v[136:139], a[24:25], v[184:185], v[136:139]// 000000003638: D3D70088 0E237118
	v_mfma_i32_16x16x32_i8 v[136:139], a[26:27], v[186:187], v[136:139]// 000000003640: D3D70088 0E23751A
	buffer_load_dwordx4 a[116:119], v35, s[24:27], 0 offen offset:1024// 000000003648: E05C1400 80867423
	v_mfma_i32_16x16x32_i8 v[136:139], a[28:29], v[188:189], v[136:139]// 000000003650: D3D70088 0E23791C
	v_mfma_i32_16x16x32_i8 v[136:139], a[30:31], v[190:191], v[136:139]// 000000003658: D3D70088 0E237D1E
	buffer_load_dword v31, s[20:23], 0 offen lds               // 000000003660: E0511000 8005001F
	s_add_u32 m0, 0x600, s50                                   // 000000003668: 807C32FF 00000600
	v_mfma_i32_16x16x32_i8 v[140:143], a[16:17], v[192:193], v[140:143]// 000000003670: D3D7008C 0E338110
	v_mfma_i32_16x16x32_i8 v[140:143], a[18:19], v[194:195], v[140:143]// 000000003678: D3D7008C 0E338512
	buffer_load_dwordx4 a[120:123], v35, s[24:27], 0 offen offset:2048// 000000003680: E05C1800 80867823
	v_mfma_i32_16x16x32_i8 v[140:143], a[20:21], v[196:197], v[140:143]// 000000003688: D3D7008C 0E338914
	v_mfma_i32_16x16x32_i8 v[140:143], a[22:23], v[198:199], v[140:143]// 000000003690: D3D7008C 0E338D16
	buffer_load_dword v32, s[20:23], 0 offen lds               // 000000003698: E0511000 80050020
	s_add_u32 m0, 0x700, s50                                   // 0000000036A0: 807C32FF 00000700
	v_mfma_i32_16x16x32_i8 v[140:143], a[24:25], v[200:201], v[140:143]// 0000000036A8: D3D7008C 0E339118
	v_mfma_i32_16x16x32_i8 v[140:143], a[26:27], v[202:203], v[140:143]// 0000000036B0: D3D7008C 0E33951A
	buffer_load_dwordx4 a[124:127], v35, s[24:27], 0 offen offset:3072// 0000000036B8: E05C1C00 80867C23
	v_mfma_i32_16x16x32_i8 v[140:143], a[28:29], v[204:205], v[140:143]// 0000000036C0: D3D7008C 0E33991C
	v_mfma_i32_16x16x32_i8 v[140:143], a[30:31], v[206:207], v[140:143]// 0000000036C8: D3D7008C 0E339D1E
	buffer_load_dword v33, s[20:23], 0 offen lds               // 0000000036D0: E0511000 80050021
	s_add_u32 m0, 0, s51                                       // 0000000036D8: 807C3380
	s_waitcnt vmcnt(28)                                        // 0000000036DC: BF8C4F7C
	v_mfma_i32_16x16x32_i8 v[144:147], a[32:33], v[176:177], v[144:147]// 0000000036E0: D3D70090 0E436120
	v_mfma_i32_16x16x32_i8 v[144:147], a[34:35], v[178:179], v[144:147]// 0000000036E8: D3D70090 0E436522
	buffer_load_dwordx4 a[128:131], v36, s[24:27], 0 offen     // 0000000036F0: E05C1000 80868024
	v_mfma_i32_16x16x32_i8 v[144:147], a[36:37], v[180:181], v[144:147]// 0000000036F8: D3D70090 0E436924
	v_mfma_i32_16x16x32_i8 v[144:147], a[38:39], v[182:183], v[144:147]// 000000003700: D3D70090 0E436D26
	ds_read_b128 v[208:211], v2 offset:8320                    // 000000003708: D9FE2080 D0000002
	v_mfma_i32_16x16x32_i8 v[144:147], a[40:41], v[184:185], v[144:147]// 000000003710: D3D70090 0E437128
	v_mfma_i32_16x16x32_i8 v[144:147], a[42:43], v[186:187], v[144:147]// 000000003718: D3D70090 0E43752A
	buffer_load_dwordx4 a[132:135], v36, s[24:27], 0 offen offset:1024// 000000003720: E05C1400 80868424
	v_mfma_i32_16x16x32_i8 v[144:147], a[44:45], v[188:189], v[144:147]// 000000003728: D3D70090 0E43792C
	v_mfma_i32_16x16x32_i8 v[144:147], a[46:47], v[190:191], v[144:147]// 000000003730: D3D70090 0E437D2E
	ds_read_b128 v[212:215], v2 offset:8384                    // 000000003738: D9FE20C0 D4000002
	v_mfma_i32_16x16x32_i8 v[148:151], a[32:33], v[192:193], v[148:151]// 000000003740: D3D70094 0E538120
	v_mfma_i32_16x16x32_i8 v[148:151], a[34:35], v[194:195], v[148:151]// 000000003748: D3D70094 0E538522
	buffer_load_dwordx4 a[136:139], v36, s[24:27], 0 offen offset:2048// 000000003750: E05C1800 80868824
	v_mfma_i32_16x16x32_i8 v[148:151], a[36:37], v[196:197], v[148:151]// 000000003758: D3D70094 0E538924
	v_mfma_i32_16x16x32_i8 v[148:151], a[38:39], v[198:199], v[148:151]// 000000003760: D3D70094 0E538D26
	ds_read_b128 v[216:219], v2 offset:8448                    // 000000003768: D9FE2100 D8000002
	v_mfma_i32_16x16x32_i8 v[148:151], a[40:41], v[200:201], v[148:151]// 000000003770: D3D70094 0E539128
	v_mfma_i32_16x16x32_i8 v[148:151], a[42:43], v[202:203], v[148:151]// 000000003778: D3D70094 0E53952A
	buffer_load_dwordx4 a[140:143], v36, s[24:27], 0 offen offset:3072// 000000003780: E05C1C00 80868C24
	v_mfma_i32_16x16x32_i8 v[148:151], a[44:45], v[204:205], v[148:151]// 000000003788: D3D70094 0E53992C
	v_mfma_i32_16x16x32_i8 v[148:151], a[46:47], v[206:207], v[148:151]// 000000003790: D3D70094 0E539D2E
	ds_read_b128 v[220:223], v2 offset:8512                    // 000000003798: D9FE2140 DC000002
	s_waitcnt vmcnt(28)                                        // 0000000037A0: BF8C4F7C
	v_mfma_i32_16x16x32_i8 v[152:155], a[48:49], v[176:177], v[152:155]// 0000000037A4: D3D70098 0E636130
	v_mfma_i32_16x16x32_i8 v[152:155], a[50:51], v[178:179], v[152:155]// 0000000037AC: D3D70098 0E636532
	buffer_load_dwordx4 a[144:147], v37, s[24:27], 0 offen     // 0000000037B4: E05C1000 80869025
	v_mfma_i32_16x16x32_i8 v[152:155], a[52:53], v[180:181], v[152:155]// 0000000037BC: D3D70098 0E636934
	v_mfma_i32_16x16x32_i8 v[152:155], a[54:55], v[182:183], v[152:155]// 0000000037C4: D3D70098 0E636D36
	ds_read_b128 v[224:227], v2 offset:9344                    // 0000000037CC: D9FE2480 E0000002
	v_mfma_i32_16x16x32_i8 v[152:155], a[56:57], v[184:185], v[152:155]// 0000000037D4: D3D70098 0E637138
	v_mfma_i32_16x16x32_i8 v[152:155], a[58:59], v[186:187], v[152:155]// 0000000037DC: D3D70098 0E63753A
	buffer_load_dwordx4 a[148:151], v37, s[24:27], 0 offen offset:1024// 0000000037E4: E05C1400 80869425
	v_mfma_i32_16x16x32_i8 v[152:155], a[60:61], v[188:189], v[152:155]// 0000000037EC: D3D70098 0E63793C
	v_mfma_i32_16x16x32_i8 v[152:155], a[62:63], v[190:191], v[152:155]// 0000000037F4: D3D70098 0E637D3E
	ds_read_b128 v[228:231], v2 offset:9408                    // 0000000037FC: D9FE24C0 E4000002
	v_mfma_i32_16x16x32_i8 v[156:159], a[48:49], v[192:193], v[156:159]// 000000003804: D3D7009C 0E738130
	v_mfma_i32_16x16x32_i8 v[156:159], a[50:51], v[194:195], v[156:159]// 00000000380C: D3D7009C 0E738532
	buffer_load_dwordx4 a[152:155], v37, s[24:27], 0 offen offset:2048// 000000003814: E05C1800 80869825
	v_mfma_i32_16x16x32_i8 v[156:159], a[52:53], v[196:197], v[156:159]// 00000000381C: D3D7009C 0E738934
	v_mfma_i32_16x16x32_i8 v[156:159], a[54:55], v[198:199], v[156:159]// 000000003824: D3D7009C 0E738D36
	ds_read_b128 v[232:235], v2 offset:9472                    // 00000000382C: D9FE2500 E8000002
	v_mfma_i32_16x16x32_i8 v[156:159], a[56:57], v[200:201], v[156:159]// 000000003834: D3D7009C 0E739138
	v_mfma_i32_16x16x32_i8 v[156:159], a[58:59], v[202:203], v[156:159]// 00000000383C: D3D7009C 0E73953A
	buffer_load_dwordx4 a[156:159], v37, s[24:27], 0 offen offset:3072// 000000003844: E05C1C00 80869C25
	v_mfma_i32_16x16x32_i8 v[156:159], a[60:61], v[204:205], v[156:159]// 00000000384C: D3D7009C 0E73993C
	v_mfma_i32_16x16x32_i8 v[156:159], a[62:63], v[206:207], v[156:159]// 000000003854: D3D7009C 0E739D3E
	ds_read_b128 v[236:239], v2 offset:9536                    // 00000000385C: D9FE2540 EC000002
	s_waitcnt vmcnt(28)                                        // 000000003864: BF8C4F7C
	v_mfma_i32_16x16x32_i8 v[160:163], a[64:65], v[176:177], v[160:163]// 000000003868: D3D700A0 0E836140
	v_mfma_i32_16x16x32_i8 v[160:163], a[66:67], v[178:179], v[160:163]// 000000003870: D3D700A0 0E836542
	buffer_load_dwordx4 a[160:163], v38, s[24:27], 0 offen     // 000000003878: E05C1000 8086A026
	v_mfma_i32_16x16x32_i8 v[160:163], a[68:69], v[180:181], v[160:163]// 000000003880: D3D700A0 0E836944
	v_mfma_i32_16x16x32_i8 v[160:163], a[70:71], v[182:183], v[160:163]// 000000003888: D3D700A0 0E836D46
	v_mfma_i32_16x16x32_i8 v[160:163], a[72:73], v[184:185], v[160:163]// 000000003890: D3D700A0 0E837148
	v_mfma_i32_16x16x32_i8 v[160:163], a[74:75], v[186:187], v[160:163]// 000000003898: D3D700A0 0E83754A
	buffer_load_dwordx4 a[164:167], v38, s[24:27], 0 offen offset:1024// 0000000038A0: E05C1400 8086A426
	v_mfma_i32_16x16x32_i8 v[160:163], a[76:77], v[188:189], v[160:163]// 0000000038A8: D3D700A0 0E83794C
	v_mfma_i32_16x16x32_i8 v[160:163], a[78:79], v[190:191], v[160:163]// 0000000038B0: D3D700A0 0E837D4E
	v_mfma_i32_16x16x32_i8 v[164:167], a[64:65], v[192:193], v[164:167]// 0000000038B8: D3D700A4 0E938140
	v_mfma_i32_16x16x32_i8 v[164:167], a[66:67], v[194:195], v[164:167]// 0000000038C0: D3D700A4 0E938542
	buffer_load_dwordx4 a[168:171], v38, s[24:27], 0 offen offset:2048// 0000000038C8: E05C1800 8086A826
	v_mfma_i32_16x16x32_i8 v[164:167], a[68:69], v[196:197], v[164:167]// 0000000038D0: D3D700A4 0E938944
	v_mfma_i32_16x16x32_i8 v[164:167], a[70:71], v[198:199], v[164:167]// 0000000038D8: D3D700A4 0E938D46
	v_mfma_i32_16x16x32_i8 v[164:167], a[72:73], v[200:201], v[164:167]// 0000000038E0: D3D700A4 0E939148
	v_mfma_i32_16x16x32_i8 v[164:167], a[74:75], v[202:203], v[164:167]// 0000000038E8: D3D700A4 0E93954A
	buffer_load_dwordx4 a[172:175], v38, s[24:27], 0 offen offset:3072// 0000000038F0: E05C1C00 8086AC26
	v_mfma_i32_16x16x32_i8 v[164:167], a[76:77], v[204:205], v[164:167]// 0000000038F8: D3D700A4 0E93994C
	v_mfma_i32_16x16x32_i8 v[164:167], a[78:79], v[206:207], v[164:167]// 000000003900: D3D700A4 0E939D4E
	s_waitcnt vmcnt(28)                                        // 000000003908: BF8C4F7C
	v_mfma_i32_16x16x32_i8 v[168:171], a[80:81], v[176:177], v[168:171]// 00000000390C: D3D700A8 0EA36150
	v_mfma_i32_16x16x32_i8 v[168:171], a[82:83], v[178:179], v[168:171]// 000000003914: D3D700A8 0EA36552
	buffer_load_dwordx4 a[176:179], v39, s[24:27], 0 offen     // 00000000391C: E05C1000 8086B027
	v_mfma_i32_16x16x32_i8 v[168:171], a[84:85], v[180:181], v[168:171]// 000000003924: D3D700A8 0EA36954
	v_mfma_i32_16x16x32_i8 v[168:171], a[86:87], v[182:183], v[168:171]// 00000000392C: D3D700A8 0EA36D56
	v_mfma_i32_16x16x32_i8 v[168:171], a[88:89], v[184:185], v[168:171]// 000000003934: D3D700A8 0EA37158
	v_mfma_i32_16x16x32_i8 v[168:171], a[90:91], v[186:187], v[168:171]// 00000000393C: D3D700A8 0EA3755A
	buffer_load_dwordx4 a[180:183], v39, s[24:27], 0 offen offset:1024// 000000003944: E05C1400 8086B427
	v_mfma_i32_16x16x32_i8 v[168:171], a[92:93], v[188:189], v[168:171]// 00000000394C: D3D700A8 0EA3795C
	v_mfma_i32_16x16x32_i8 v[168:171], a[94:95], v[190:191], v[168:171]// 000000003954: D3D700A8 0EA37D5E
	v_mfma_i32_16x16x32_i8 v[172:175], a[80:81], v[192:193], v[172:175]// 00000000395C: D3D700AC 0EB38150
	v_mfma_i32_16x16x32_i8 v[172:175], a[82:83], v[194:195], v[172:175]// 000000003964: D3D700AC 0EB38552
	buffer_load_dwordx4 a[184:187], v39, s[24:27], 0 offen offset:2048// 00000000396C: E05C1800 8086B827
	v_mfma_i32_16x16x32_i8 v[172:175], a[84:85], v[196:197], v[172:175]// 000000003974: D3D700AC 0EB38954
	v_mfma_i32_16x16x32_i8 v[172:175], a[86:87], v[198:199], v[172:175]// 00000000397C: D3D700AC 0EB38D56
	v_mfma_i32_16x16x32_i8 v[172:175], a[88:89], v[200:201], v[172:175]// 000000003984: D3D700AC 0EB39158
	v_mfma_i32_16x16x32_i8 v[172:175], a[90:91], v[202:203], v[172:175]// 00000000398C: D3D700AC 0EB3955A
	buffer_load_dwordx4 a[188:191], v39, s[24:27], 0 offen offset:3072// 000000003994: E05C1C00 8086BC27
	v_mfma_i32_16x16x32_i8 v[172:175], a[92:93], v[204:205], v[172:175]// 00000000399C: D3D700AC 0EB3995C
	v_mfma_i32_16x16x32_i8 v[172:175], a[94:95], v[206:207], v[172:175]// 0000000039A4: D3D700AC 0EB39D5E
	s_add_u32 s60, 0x300, s80                                  // 0000000039AC: 803C50FF 00000300
	s_cmp_lt_u32 s60, s81                                      // 0000000039B4: BF0A513C
	s_cselect_b32 s57, s57, 0                                  // 0000000039B8: 85398039
	s_add_u32 s60, 0x200, s80                                  // 0000000039BC: 803C50FF 00000200
	s_cmp_lt_u32 s60, s81                                      // 0000000039C4: BF0A513C
	s_cselect_b32 s58, s58, 0                                  // 0000000039C8: 853A803A
	s_add_u32 s20, s57, s20                                    // 0000000039CC: 80141439
	s_addc_u32 s21, 0, s21                                     // 0000000039D0: 82151580
	s_add_u32 s24, s58, s24                                    // 0000000039D4: 8018183A
	s_addc_u32 s25, 0, s25                                     // 0000000039D8: 82191980
	s_addk_i32 s80, 0x100                                      // 0000000039DC: B7500100
	s_cmp_lt_i32 s80, s81                                      // 0000000039E0: BF045150
	s_cbranch_scc0 label_04EF                                  // 0000000039E4: BF840135
	s_waitcnt vmcnt(16) lgkmcnt(0)                             // 0000000039E8: BF8C4070
	s_barrier                                                  // 0000000039EC: BF8A0000
	v_mfma_i32_16x16x32_i8 v[128:131], a[96:97], v[208:209], v[128:131]// 0000000039F0: D3D70080 0E03A160
	v_mfma_i32_16x16x32_i8 v[128:131], a[98:99], v[210:211], v[128:131]// 0000000039F8: D3D70080 0E03A562
	buffer_load_dwordx4 a[0:3], v34, s[24:27], 0 offen         // 000000003A00: E05C1000 80860022
	v_mfma_i32_16x16x32_i8 v[128:131], a[100:101], v[212:213], v[128:131]// 000000003A08: D3D70080 0E03A964
	v_mfma_i32_16x16x32_i8 v[128:131], a[102:103], v[214:215], v[128:131]// 000000003A10: D3D70080 0E03AD66
	buffer_load_dword v26, s[20:23], 0 offen lds               // 000000003A18: E0511000 8005001A
	s_add_u32 m0, 0x100, s51                                   // 000000003A20: 807C33FF 00000100
	v_mfma_i32_16x16x32_i8 v[128:131], a[104:105], v[216:217], v[128:131]// 000000003A28: D3D70080 0E03B168
	v_mfma_i32_16x16x32_i8 v[128:131], a[106:107], v[218:219], v[128:131]// 000000003A30: D3D70080 0E03B56A
	buffer_load_dwordx4 a[4:7], v34, s[24:27], 0 offen offset:1024// 000000003A38: E05C1400 80860422
	v_mfma_i32_16x16x32_i8 v[128:131], a[108:109], v[220:221], v[128:131]// 000000003A40: D3D70080 0E03B96C
	v_mfma_i32_16x16x32_i8 v[128:131], a[110:111], v[222:223], v[128:131]// 000000003A48: D3D70080 0E03BD6E
	buffer_load_dword v27, s[20:23], 0 offen lds               // 000000003A50: E0511000 8005001B
	s_add_u32 m0, 0x200, s51                                   // 000000003A58: 807C33FF 00000200
	v_mfma_i32_16x16x32_i8 v[132:135], a[96:97], v[224:225], v[132:135]// 000000003A60: D3D70084 0E13C160
	v_mfma_i32_16x16x32_i8 v[132:135], a[98:99], v[226:227], v[132:135]// 000000003A68: D3D70084 0E13C562
	buffer_load_dwordx4 a[8:11], v34, s[24:27], 0 offen offset:2048// 000000003A70: E05C1800 80860822
	v_mfma_i32_16x16x32_i8 v[132:135], a[100:101], v[228:229], v[132:135]// 000000003A78: D3D70084 0E13C964
	v_mfma_i32_16x16x32_i8 v[132:135], a[102:103], v[230:231], v[132:135]// 000000003A80: D3D70084 0E13CD66
	buffer_load_dword v28, s[20:23], 0 offen lds               // 000000003A88: E0511000 8005001C
	s_add_u32 m0, 0x300, s51                                   // 000000003A90: 807C33FF 00000300
	v_mfma_i32_16x16x32_i8 v[132:135], a[104:105], v[232:233], v[132:135]// 000000003A98: D3D70084 0E13D168
	v_mfma_i32_16x16x32_i8 v[132:135], a[106:107], v[234:235], v[132:135]// 000000003AA0: D3D70084 0E13D56A
	buffer_load_dwordx4 a[12:15], v34, s[24:27], 0 offen offset:3072// 000000003AA8: E05C1C00 80860C22
	v_mfma_i32_16x16x32_i8 v[132:135], a[108:109], v[236:237], v[132:135]// 000000003AB0: D3D70084 0E13D96C
	v_mfma_i32_16x16x32_i8 v[132:135], a[110:111], v[238:239], v[132:135]// 000000003AB8: D3D70084 0E13DD6E
	buffer_load_dword v29, s[20:23], 0 offen lds               // 000000003AC0: E0511000 8005001D
	s_add_u32 m0, 0x400, s51                                   // 000000003AC8: 807C33FF 00000400
	v_mfma_i32_16x16x32_i8 v[136:139], a[112:113], v[208:209], v[136:139]// 000000003AD0: D3D70088 0E23A170
	v_mfma_i32_16x16x32_i8 v[136:139], a[114:115], v[210:211], v[136:139]// 000000003AD8: D3D70088 0E23A572
	buffer_load_dwordx4 a[16:19], v35, s[24:27], 0 offen       // 000000003AE0: E05C1000 80861023
	v_mfma_i32_16x16x32_i8 v[136:139], a[116:117], v[212:213], v[136:139]// 000000003AE8: D3D70088 0E23A974
	v_mfma_i32_16x16x32_i8 v[136:139], a[118:119], v[214:215], v[136:139]// 000000003AF0: D3D70088 0E23AD76
	buffer_load_dword v30, s[20:23], 0 offen lds               // 000000003AF8: E0511000 8005001E
	s_add_u32 m0, 0x500, s51                                   // 000000003B00: 807C33FF 00000500
	v_mfma_i32_16x16x32_i8 v[136:139], a[120:121], v[216:217], v[136:139]// 000000003B08: D3D70088 0E23B178
	v_mfma_i32_16x16x32_i8 v[136:139], a[122:123], v[218:219], v[136:139]// 000000003B10: D3D70088 0E23B57A
	buffer_load_dwordx4 a[20:23], v35, s[24:27], 0 offen offset:1024// 000000003B18: E05C1400 80861423
	v_mfma_i32_16x16x32_i8 v[136:139], a[124:125], v[220:221], v[136:139]// 000000003B20: D3D70088 0E23B97C
	v_mfma_i32_16x16x32_i8 v[136:139], a[126:127], v[222:223], v[136:139]// 000000003B28: D3D70088 0E23BD7E
	buffer_load_dword v31, s[20:23], 0 offen lds               // 000000003B30: E0511000 8005001F
	s_add_u32 m0, 0x600, s51                                   // 000000003B38: 807C33FF 00000600
	v_mfma_i32_16x16x32_i8 v[140:143], a[112:113], v[224:225], v[140:143]// 000000003B40: D3D7008C 0E33C170
	v_mfma_i32_16x16x32_i8 v[140:143], a[114:115], v[226:227], v[140:143]// 000000003B48: D3D7008C 0E33C572
	buffer_load_dwordx4 a[24:27], v35, s[24:27], 0 offen offset:2048// 000000003B50: E05C1800 80861823
	v_mfma_i32_16x16x32_i8 v[140:143], a[116:117], v[228:229], v[140:143]// 000000003B58: D3D7008C 0E33C974
	v_mfma_i32_16x16x32_i8 v[140:143], a[118:119], v[230:231], v[140:143]// 000000003B60: D3D7008C 0E33CD76
	buffer_load_dword v32, s[20:23], 0 offen lds               // 000000003B68: E0511000 80050020
	s_add_u32 m0, 0x700, s51                                   // 000000003B70: 807C33FF 00000700
	v_mfma_i32_16x16x32_i8 v[140:143], a[120:121], v[232:233], v[140:143]// 000000003B78: D3D7008C 0E33D178
	v_mfma_i32_16x16x32_i8 v[140:143], a[122:123], v[234:235], v[140:143]// 000000003B80: D3D7008C 0E33D57A
	buffer_load_dwordx4 a[28:31], v35, s[24:27], 0 offen offset:3072// 000000003B88: E05C1C00 80861C23
	v_mfma_i32_16x16x32_i8 v[140:143], a[124:125], v[236:237], v[140:143]// 000000003B90: D3D7008C 0E33D97C
	v_mfma_i32_16x16x32_i8 v[140:143], a[126:127], v[238:239], v[140:143]// 000000003B98: D3D7008C 0E33DD7E
	buffer_load_dword v33, s[20:23], 0 offen lds               // 000000003BA0: E0511000 80050021
	s_add_u32 m0, 0, s50                                       // 000000003BA8: 807C3280
	s_waitcnt vmcnt(28)                                        // 000000003BAC: BF8C4F7C
	v_mfma_i32_16x16x32_i8 v[144:147], a[128:129], v[208:209], v[144:147]// 000000003BB0: D3D70090 0E43A180
	v_mfma_i32_16x16x32_i8 v[144:147], a[130:131], v[210:211], v[144:147]// 000000003BB8: D3D70090 0E43A582
	buffer_load_dwordx4 a[32:35], v36, s[24:27], 0 offen       // 000000003BC0: E05C1000 80862024
	v_mfma_i32_16x16x32_i8 v[144:147], a[132:133], v[212:213], v[144:147]// 000000003BC8: D3D70090 0E43A984
	v_mfma_i32_16x16x32_i8 v[144:147], a[134:135], v[214:215], v[144:147]// 000000003BD0: D3D70090 0E43AD86
	ds_read_b128 v[176:179], v2                                // 000000003BD8: D9FE0000 B0000002
	v_mfma_i32_16x16x32_i8 v[144:147], a[136:137], v[216:217], v[144:147]// 000000003BE0: D3D70090 0E43B188
	v_mfma_i32_16x16x32_i8 v[144:147], a[138:139], v[218:219], v[144:147]// 000000003BE8: D3D70090 0E43B58A
	buffer_load_dwordx4 a[36:39], v36, s[24:27], 0 offen offset:1024// 000000003BF0: E05C1400 80862424
	v_mfma_i32_16x16x32_i8 v[144:147], a[140:141], v[220:221], v[144:147]// 000000003BF8: D3D70090 0E43B98C
	v_mfma_i32_16x16x32_i8 v[144:147], a[142:143], v[222:223], v[144:147]// 000000003C00: D3D70090 0E43BD8E
	ds_read_b128 v[180:183], v2 offset:64                      // 000000003C08: D9FE0040 B4000002
	v_mfma_i32_16x16x32_i8 v[148:151], a[128:129], v[224:225], v[148:151]// 000000003C10: D3D70094 0E53C180
	v_mfma_i32_16x16x32_i8 v[148:151], a[130:131], v[226:227], v[148:151]// 000000003C18: D3D70094 0E53C582
	buffer_load_dwordx4 a[40:43], v36, s[24:27], 0 offen offset:2048// 000000003C20: E05C1800 80862824
	v_mfma_i32_16x16x32_i8 v[148:151], a[132:133], v[228:229], v[148:151]// 000000003C28: D3D70094 0E53C984
	v_mfma_i32_16x16x32_i8 v[148:151], a[134:135], v[230:231], v[148:151]// 000000003C30: D3D70094 0E53CD86
	ds_read_b128 v[184:187], v2 offset:128                     // 000000003C38: D9FE0080 B8000002
	v_mfma_i32_16x16x32_i8 v[148:151], a[136:137], v[232:233], v[148:151]// 000000003C40: D3D70094 0E53D188
	v_mfma_i32_16x16x32_i8 v[148:151], a[138:139], v[234:235], v[148:151]// 000000003C48: D3D70094 0E53D58A
	buffer_load_dwordx4 a[44:47], v36, s[24:27], 0 offen offset:3072// 000000003C50: E05C1C00 80862C24
	v_mfma_i32_16x16x32_i8 v[148:151], a[140:141], v[236:237], v[148:151]// 000000003C58: D3D70094 0E53D98C
	v_mfma_i32_16x16x32_i8 v[148:151], a[142:143], v[238:239], v[148:151]// 000000003C60: D3D70094 0E53DD8E
	ds_read_b128 v[188:191], v2 offset:192                     // 000000003C68: D9FE00C0 BC000002
	s_waitcnt vmcnt(28)                                        // 000000003C70: BF8C4F7C
	v_mfma_i32_16x16x32_i8 v[152:155], a[144:145], v[208:209], v[152:155]// 000000003C74: D3D70098 0E63A190
	v_mfma_i32_16x16x32_i8 v[152:155], a[146:147], v[210:211], v[152:155]// 000000003C7C: D3D70098 0E63A592
	buffer_load_dwordx4 a[48:51], v37, s[24:27], 0 offen       // 000000003C84: E05C1000 80863025
	v_mfma_i32_16x16x32_i8 v[152:155], a[148:149], v[212:213], v[152:155]// 000000003C8C: D3D70098 0E63A994
	v_mfma_i32_16x16x32_i8 v[152:155], a[150:151], v[214:215], v[152:155]// 000000003C94: D3D70098 0E63AD96
	ds_read_b128 v[192:195], v2 offset:1024                    // 000000003C9C: D9FE0400 C0000002
	v_mfma_i32_16x16x32_i8 v[152:155], a[152:153], v[216:217], v[152:155]// 000000003CA4: D3D70098 0E63B198
	v_mfma_i32_16x16x32_i8 v[152:155], a[154:155], v[218:219], v[152:155]// 000000003CAC: D3D70098 0E63B59A
	buffer_load_dwordx4 a[52:55], v37, s[24:27], 0 offen offset:1024// 000000003CB4: E05C1400 80863425
	v_mfma_i32_16x16x32_i8 v[152:155], a[156:157], v[220:221], v[152:155]// 000000003CBC: D3D70098 0E63B99C
	v_mfma_i32_16x16x32_i8 v[152:155], a[158:159], v[222:223], v[152:155]// 000000003CC4: D3D70098 0E63BD9E
	ds_read_b128 v[196:199], v2 offset:1088                    // 000000003CCC: D9FE0440 C4000002
	v_mfma_i32_16x16x32_i8 v[156:159], a[144:145], v[224:225], v[156:159]// 000000003CD4: D3D7009C 0E73C190
	v_mfma_i32_16x16x32_i8 v[156:159], a[146:147], v[226:227], v[156:159]// 000000003CDC: D3D7009C 0E73C592
	buffer_load_dwordx4 a[56:59], v37, s[24:27], 0 offen offset:2048// 000000003CE4: E05C1800 80863825
	v_mfma_i32_16x16x32_i8 v[156:159], a[148:149], v[228:229], v[156:159]// 000000003CEC: D3D7009C 0E73C994
	v_mfma_i32_16x16x32_i8 v[156:159], a[150:151], v[230:231], v[156:159]// 000000003CF4: D3D7009C 0E73CD96
	ds_read_b128 v[200:203], v2 offset:1152                    // 000000003CFC: D9FE0480 C8000002
	v_mfma_i32_16x16x32_i8 v[156:159], a[152:153], v[232:233], v[156:159]// 000000003D04: D3D7009C 0E73D198
	v_mfma_i32_16x16x32_i8 v[156:159], a[154:155], v[234:235], v[156:159]// 000000003D0C: D3D7009C 0E73D59A
	buffer_load_dwordx4 a[60:63], v37, s[24:27], 0 offen offset:3072// 000000003D14: E05C1C00 80863C25
	v_mfma_i32_16x16x32_i8 v[156:159], a[156:157], v[236:237], v[156:159]// 000000003D1C: D3D7009C 0E73D99C
	v_mfma_i32_16x16x32_i8 v[156:159], a[158:159], v[238:239], v[156:159]// 000000003D24: D3D7009C 0E73DD9E
	ds_read_b128 v[204:207], v2 offset:1216                    // 000000003D2C: D9FE04C0 CC000002
	s_waitcnt vmcnt(28)                                        // 000000003D34: BF8C4F7C
	v_mfma_i32_16x16x32_i8 v[160:163], a[160:161], v[208:209], v[160:163]// 000000003D38: D3D700A0 0E83A1A0
	v_mfma_i32_16x16x32_i8 v[160:163], a[162:163], v[210:211], v[160:163]// 000000003D40: D3D700A0 0E83A5A2
	buffer_load_dwordx4 a[64:67], v38, s[24:27], 0 offen       // 000000003D48: E05C1000 80864026
	v_mfma_i32_16x16x32_i8 v[160:163], a[164:165], v[212:213], v[160:163]// 000000003D50: D3D700A0 0E83A9A4
	v_mfma_i32_16x16x32_i8 v[160:163], a[166:167], v[214:215], v[160:163]// 000000003D58: D3D700A0 0E83ADA6
	v_mfma_i32_16x16x32_i8 v[160:163], a[168:169], v[216:217], v[160:163]// 000000003D60: D3D700A0 0E83B1A8
	v_mfma_i32_16x16x32_i8 v[160:163], a[170:171], v[218:219], v[160:163]// 000000003D68: D3D700A0 0E83B5AA
	buffer_load_dwordx4 a[68:71], v38, s[24:27], 0 offen offset:1024// 000000003D70: E05C1400 80864426
	v_mfma_i32_16x16x32_i8 v[160:163], a[172:173], v[220:221], v[160:163]// 000000003D78: D3D700A0 0E83B9AC
	v_mfma_i32_16x16x32_i8 v[160:163], a[174:175], v[222:223], v[160:163]// 000000003D80: D3D700A0 0E83BDAE
	v_mfma_i32_16x16x32_i8 v[164:167], a[160:161], v[224:225], v[164:167]// 000000003D88: D3D700A4 0E93C1A0
	v_mfma_i32_16x16x32_i8 v[164:167], a[162:163], v[226:227], v[164:167]// 000000003D90: D3D700A4 0E93C5A2
	buffer_load_dwordx4 a[72:75], v38, s[24:27], 0 offen offset:2048// 000000003D98: E05C1800 80864826
	v_mfma_i32_16x16x32_i8 v[164:167], a[164:165], v[228:229], v[164:167]// 000000003DA0: D3D700A4 0E93C9A4
	v_mfma_i32_16x16x32_i8 v[164:167], a[166:167], v[230:231], v[164:167]// 000000003DA8: D3D700A4 0E93CDA6
	v_mfma_i32_16x16x32_i8 v[164:167], a[168:169], v[232:233], v[164:167]// 000000003DB0: D3D700A4 0E93D1A8
	v_mfma_i32_16x16x32_i8 v[164:167], a[170:171], v[234:235], v[164:167]// 000000003DB8: D3D700A4 0E93D5AA
	buffer_load_dwordx4 a[76:79], v38, s[24:27], 0 offen offset:3072// 000000003DC0: E05C1C00 80864C26
	v_mfma_i32_16x16x32_i8 v[164:167], a[172:173], v[236:237], v[164:167]// 000000003DC8: D3D700A4 0E93D9AC
	v_mfma_i32_16x16x32_i8 v[164:167], a[174:175], v[238:239], v[164:167]// 000000003DD0: D3D700A4 0E93DDAE
	s_waitcnt vmcnt(28)                                        // 000000003DD8: BF8C4F7C
	v_mfma_i32_16x16x32_i8 v[168:171], a[176:177], v[208:209], v[168:171]// 000000003DDC: D3D700A8 0EA3A1B0
	v_mfma_i32_16x16x32_i8 v[168:171], a[178:179], v[210:211], v[168:171]// 000000003DE4: D3D700A8 0EA3A5B2
	buffer_load_dwordx4 a[80:83], v39, s[24:27], 0 offen       // 000000003DEC: E05C1000 80865027
	v_mfma_i32_16x16x32_i8 v[168:171], a[180:181], v[212:213], v[168:171]// 000000003DF4: D3D700A8 0EA3A9B4
	v_mfma_i32_16x16x32_i8 v[168:171], a[182:183], v[214:215], v[168:171]// 000000003DFC: D3D700A8 0EA3ADB6
	v_mfma_i32_16x16x32_i8 v[168:171], a[184:185], v[216:217], v[168:171]// 000000003E04: D3D700A8 0EA3B1B8
	v_mfma_i32_16x16x32_i8 v[168:171], a[186:187], v[218:219], v[168:171]// 000000003E0C: D3D700A8 0EA3B5BA
	buffer_load_dwordx4 a[84:87], v39, s[24:27], 0 offen offset:1024// 000000003E14: E05C1400 80865427
	v_mfma_i32_16x16x32_i8 v[168:171], a[188:189], v[220:221], v[168:171]// 000000003E1C: D3D700A8 0EA3B9BC
	v_mfma_i32_16x16x32_i8 v[168:171], a[190:191], v[222:223], v[168:171]// 000000003E24: D3D700A8 0EA3BDBE
	v_mfma_i32_16x16x32_i8 v[172:175], a[176:177], v[224:225], v[172:175]// 000000003E2C: D3D700AC 0EB3C1B0
	v_mfma_i32_16x16x32_i8 v[172:175], a[178:179], v[226:227], v[172:175]// 000000003E34: D3D700AC 0EB3C5B2
	buffer_load_dwordx4 a[88:91], v39, s[24:27], 0 offen offset:2048// 000000003E3C: E05C1800 80865827
	v_mfma_i32_16x16x32_i8 v[172:175], a[180:181], v[228:229], v[172:175]// 000000003E44: D3D700AC 0EB3C9B4
	v_mfma_i32_16x16x32_i8 v[172:175], a[182:183], v[230:231], v[172:175]// 000000003E4C: D3D700AC 0EB3CDB6
	v_mfma_i32_16x16x32_i8 v[172:175], a[184:185], v[232:233], v[172:175]// 000000003E54: D3D700AC 0EB3D1B8
	v_mfma_i32_16x16x32_i8 v[172:175], a[186:187], v[234:235], v[172:175]// 000000003E5C: D3D700AC 0EB3D5BA
	buffer_load_dwordx4 a[92:95], v39, s[24:27], 0 offen offset:3072// 000000003E64: E05C1C00 80865C27
	v_mfma_i32_16x16x32_i8 v[172:175], a[188:189], v[236:237], v[172:175]// 000000003E6C: D3D700AC 0EB3D9BC
	v_mfma_i32_16x16x32_i8 v[172:175], a[190:191], v[238:239], v[172:175]// 000000003E74: D3D700AC 0EB3DDBE
	s_add_u32 s60, 0x300, s80                                  // 000000003E7C: 803C50FF 00000300
	s_cmp_lt_u32 s60, s81                                      // 000000003E84: BF0A513C
	s_cselect_b32 s57, s57, 0                                  // 000000003E88: 85398039
	s_add_u32 s60, 0x200, s80                                  // 000000003E8C: 803C50FF 00000200
	s_cmp_lt_u32 s60, s81                                      // 000000003E94: BF0A513C
	s_cselect_b32 s58, s58, 0                                  // 000000003E98: 853A803A
	s_add_u32 s20, s57, s20                                    // 000000003E9C: 80141439
	s_addc_u32 s21, 0, s21                                     // 000000003EA0: 82151580
	s_add_u32 s24, s58, s24                                    // 000000003EA4: 8018183A
	s_addc_u32 s25, 0, s25                                     // 000000003EA8: 82191980
	s_addk_i32 s80, 0x100                                      // 000000003EAC: B7500100
	s_cmp_lt_i32 s80, s81                                      // 000000003EB0: BF045150
	s_cbranch_scc0 label_04EF                                  // 000000003EB4: BF840001
	s_branch label_0286                                        // 000000003EB8: BF82FD97

0000000000003ebc <label_04EF>:
	s_mov_b32 s36, -1                                          // 000000003EBC: BEA400C1
	s_mov_b32 s37, -1                                          // 000000003EC0: BEA500C1
	s_mov_b64 s[60:61], 0                                      // 000000003EC4: BEBC0180
	s_cmp_lt_u32 s82, s66                                      // 000000003EC8: BF0A4252
	s_cselect_b64 s[20:21], s[36:37], s[60:61]                 // 000000003ECC: 85943C24
	s_cmp_lt_u32 s83, s66                                      // 000000003ED0: BF0A4253
	s_cselect_b64 s[22:23], s[36:37], s[60:61]                 // 000000003ED4: 85963C24
	s_cmp_lt_u32 s84, s66                                      // 000000003ED8: BF0A4254
	s_cselect_b64 s[24:25], s[36:37], s[60:61]                 // 000000003EDC: 85983C24
	s_cmp_lt_u32 s85, s66                                      // 000000003EE0: BF0A4255
	s_cselect_b64 s[26:27], s[36:37], s[60:61]                 // 000000003EE4: 859A3C24
	s_cmp_lt_u32 s86, s66                                      // 000000003EE8: BF0A4256
	s_cselect_b64 s[28:29], s[36:37], s[60:61]                 // 000000003EEC: 859C3C24
	s_cmp_lt_u32 s87, s66                                      // 000000003EF0: BF0A4257
	s_cselect_b64 s[30:31], s[36:37], s[60:61]                 // 000000003EF4: 859E3C24
	s_cmp_lt_u32 s88, s66                                      // 000000003EF8: BF0A4258
	s_cselect_b64 s[32:33], s[36:37], s[60:61]                 // 000000003EFC: 85A03C24
	s_cmp_lt_u32 s89, s66                                      // 000000003F00: BF0A4259
	s_cselect_b64 s[34:35], s[36:37], s[60:61]                 // 000000003F04: 85A23C24
	v_cvt_f32_i32_e32 v128, v128                               // 000000003F08: 7F000B80
	v_cvt_f32_i32_e32 v129, v129                               // 000000003F0C: 7F020B81
	v_cvt_f32_i32_e32 v130, v130                               // 000000003F10: 7F040B82
	v_cvt_f32_i32_e32 v131, v131                               // 000000003F14: 7F060B83
	v_mul_f32_e32 v128, v14, v128                              // 000000003F18: 0B01010E
	v_mul_f32_e32 v129, v14, v129                              // 000000003F1C: 0B03030E
	v_mul_f32_e32 v130, v14, v130                              // 000000003F20: 0B05050E
	v_mul_f32_e32 v131, v14, v131                              // 000000003F24: 0B07070E
	v_mul_f32_dpp v128, v16, v128 row_newbcast:0 row_mask:0xf bank_mask:0xf// 000000003F28: 0B0100FA FF015010
	v_mul_f32_dpp v129, v16, v129 row_newbcast:1 row_mask:0xf bank_mask:0xf// 000000003F30: 0B0302FA FF015110
	v_mul_f32_dpp v130, v16, v130 row_newbcast:2 row_mask:0xf bank_mask:0xf// 000000003F38: 0B0504FA FF015210
	v_mul_f32_dpp v131, v16, v131 row_newbcast:3 row_mask:0xf bank_mask:0xf// 000000003F40: 0B0706FA FF015310
	v_cvt_f32_i32_e32 v132, v132                               // 000000003F48: 7F080B84
	v_cvt_f32_i32_e32 v133, v133                               // 000000003F4C: 7F0A0B85
	v_cvt_f32_i32_e32 v134, v134                               // 000000003F50: 7F0C0B86
	v_cvt_f32_i32_e32 v135, v135                               // 000000003F54: 7F0E0B87
	v_mul_f32_e32 v132, v15, v132                              // 000000003F58: 0B09090F
	v_mul_f32_e32 v133, v15, v133                              // 000000003F5C: 0B0B0B0F
	v_mul_f32_e32 v134, v15, v134                              // 000000003F60: 0B0D0D0F
	v_mul_f32_e32 v135, v15, v135                              // 000000003F64: 0B0F0F0F
	v_mul_f32_dpp v132, v16, v132 row_newbcast:0 row_mask:0xf bank_mask:0xf// 000000003F68: 0B0908FA FF015010
	v_mul_f32_dpp v133, v16, v133 row_newbcast:1 row_mask:0xf bank_mask:0xf// 000000003F70: 0B0B0AFA FF015110
	v_mul_f32_dpp v134, v16, v134 row_newbcast:2 row_mask:0xf bank_mask:0xf// 000000003F78: 0B0D0CFA FF015210
	v_mul_f32_dpp v135, v16, v135 row_newbcast:3 row_mask:0xf bank_mask:0xf// 000000003F80: 0B0F0EFA FF015310
	v_cvt_f32_i32_e32 v136, v136                               // 000000003F88: 7F100B88
	v_cvt_f32_i32_e32 v137, v137                               // 000000003F8C: 7F120B89
	v_cvt_f32_i32_e32 v138, v138                               // 000000003F90: 7F140B8A
	v_cvt_f32_i32_e32 v139, v139                               // 000000003F94: 7F160B8B
	v_mul_f32_e32 v136, v14, v136                              // 000000003F98: 0B11110E
	v_mul_f32_e32 v137, v14, v137                              // 000000003F9C: 0B13130E
	v_mul_f32_e32 v138, v14, v138                              // 000000003FA0: 0B15150E
	v_mul_f32_e32 v139, v14, v139                              // 000000003FA4: 0B17170E
	v_mul_f32_dpp v136, v16, v136 row_newbcast:4 row_mask:0xf bank_mask:0xf// 000000003FA8: 0B1110FA FF015410
	v_mul_f32_dpp v137, v16, v137 row_newbcast:5 row_mask:0xf bank_mask:0xf// 000000003FB0: 0B1312FA FF015510
	v_mul_f32_dpp v138, v16, v138 row_newbcast:6 row_mask:0xf bank_mask:0xf// 000000003FB8: 0B1514FA FF015610
	v_mul_f32_dpp v139, v16, v139 row_newbcast:7 row_mask:0xf bank_mask:0xf// 000000003FC0: 0B1716FA FF015710
	v_cvt_f32_i32_e32 v140, v140                               // 000000003FC8: 7F180B8C
	v_cvt_f32_i32_e32 v141, v141                               // 000000003FCC: 7F1A0B8D
	v_cvt_f32_i32_e32 v142, v142                               // 000000003FD0: 7F1C0B8E
	v_cvt_f32_i32_e32 v143, v143                               // 000000003FD4: 7F1E0B8F
	v_mul_f32_e32 v140, v15, v140                              // 000000003FD8: 0B19190F
	v_mul_f32_e32 v141, v15, v141                              // 000000003FDC: 0B1B1B0F
	v_mul_f32_e32 v142, v15, v142                              // 000000003FE0: 0B1D1D0F
	v_mul_f32_e32 v143, v15, v143                              // 000000003FE4: 0B1F1F0F
	v_mul_f32_dpp v140, v16, v140 row_newbcast:4 row_mask:0xf bank_mask:0xf// 000000003FE8: 0B1918FA FF015410
	v_mul_f32_dpp v141, v16, v141 row_newbcast:5 row_mask:0xf bank_mask:0xf// 000000003FF0: 0B1B1AFA FF015510
	v_mul_f32_dpp v142, v16, v142 row_newbcast:6 row_mask:0xf bank_mask:0xf// 000000003FF8: 0B1D1CFA FF015610
	v_mul_f32_dpp v143, v16, v143 row_newbcast:7 row_mask:0xf bank_mask:0xf// 000000004000: 0B1F1EFA FF015710
	v_cvt_f32_i32_e32 v144, v144                               // 000000004008: 7F200B90
	v_cvt_f32_i32_e32 v145, v145                               // 00000000400C: 7F220B91
	v_cvt_f32_i32_e32 v146, v146                               // 000000004010: 7F240B92
	v_cvt_f32_i32_e32 v147, v147                               // 000000004014: 7F260B93
	v_mul_f32_e32 v144, v14, v144                              // 000000004018: 0B21210E
	v_mul_f32_e32 v145, v14, v145                              // 00000000401C: 0B23230E
	v_mul_f32_e32 v146, v14, v146                              // 000000004020: 0B25250E
	v_mul_f32_e32 v147, v14, v147                              // 000000004024: 0B27270E
	v_mul_f32_dpp v144, v16, v144 row_newbcast:8 row_mask:0xf bank_mask:0xf// 000000004028: 0B2120FA FF015810
	v_mul_f32_dpp v145, v16, v145 row_newbcast:9 row_mask:0xf bank_mask:0xf// 000000004030: 0B2322FA FF015910
	v_mul_f32_dpp v146, v16, v146 row_newbcast:10 row_mask:0xf bank_mask:0xf// 000000004038: 0B2524FA FF015A10
	v_mul_f32_dpp v147, v16, v147 row_newbcast:11 row_mask:0xf bank_mask:0xf// 000000004040: 0B2726FA FF015B10
	v_cvt_f32_i32_e32 v148, v148                               // 000000004048: 7F280B94
	v_cvt_f32_i32_e32 v149, v149                               // 00000000404C: 7F2A0B95
	v_cvt_f32_i32_e32 v150, v150                               // 000000004050: 7F2C0B96
	v_cvt_f32_i32_e32 v151, v151                               // 000000004054: 7F2E0B97
	v_mul_f32_e32 v148, v15, v148                              // 000000004058: 0B29290F
	v_mul_f32_e32 v149, v15, v149                              // 00000000405C: 0B2B2B0F
	v_mul_f32_e32 v150, v15, v150                              // 000000004060: 0B2D2D0F
	v_mul_f32_e32 v151, v15, v151                              // 000000004064: 0B2F2F0F
	v_mul_f32_dpp v148, v16, v148 row_newbcast:8 row_mask:0xf bank_mask:0xf// 000000004068: 0B2928FA FF015810
	v_mul_f32_dpp v149, v16, v149 row_newbcast:9 row_mask:0xf bank_mask:0xf// 000000004070: 0B2B2AFA FF015910
	v_mul_f32_dpp v150, v16, v150 row_newbcast:10 row_mask:0xf bank_mask:0xf// 000000004078: 0B2D2CFA FF015A10
	v_mul_f32_dpp v151, v16, v151 row_newbcast:11 row_mask:0xf bank_mask:0xf// 000000004080: 0B2F2EFA FF015B10
	v_cvt_f32_i32_e32 v152, v152                               // 000000004088: 7F300B98
	v_cvt_f32_i32_e32 v153, v153                               // 00000000408C: 7F320B99
	v_cvt_f32_i32_e32 v154, v154                               // 000000004090: 7F340B9A
	v_cvt_f32_i32_e32 v155, v155                               // 000000004094: 7F360B9B
	v_mul_f32_e32 v152, v14, v152                              // 000000004098: 0B31310E
	v_mul_f32_e32 v153, v14, v153                              // 00000000409C: 0B33330E
	v_mul_f32_e32 v154, v14, v154                              // 0000000040A0: 0B35350E
	v_mul_f32_e32 v155, v14, v155                              // 0000000040A4: 0B37370E
	v_mul_f32_dpp v152, v16, v152 row_newbcast:12 row_mask:0xf bank_mask:0xf// 0000000040A8: 0B3130FA FF015C10
	v_mul_f32_dpp v153, v16, v153 row_newbcast:13 row_mask:0xf bank_mask:0xf// 0000000040B0: 0B3332FA FF015D10
	v_mul_f32_dpp v154, v16, v154 row_newbcast:14 row_mask:0xf bank_mask:0xf// 0000000040B8: 0B3534FA FF015E10
	v_mul_f32_dpp v155, v16, v155 row_newbcast:15 row_mask:0xf bank_mask:0xf// 0000000040C0: 0B3736FA FF015F10
	v_cvt_f32_i32_e32 v156, v156                               // 0000000040C8: 7F380B9C
	v_cvt_f32_i32_e32 v157, v157                               // 0000000040CC: 7F3A0B9D
	v_cvt_f32_i32_e32 v158, v158                               // 0000000040D0: 7F3C0B9E
	v_cvt_f32_i32_e32 v159, v159                               // 0000000040D4: 7F3E0B9F
	v_mul_f32_e32 v156, v15, v156                              // 0000000040D8: 0B39390F
	v_mul_f32_e32 v157, v15, v157                              // 0000000040DC: 0B3B3B0F
	v_mul_f32_e32 v158, v15, v158                              // 0000000040E0: 0B3D3D0F
	v_mul_f32_e32 v159, v15, v159                              // 0000000040E4: 0B3F3F0F
	v_mul_f32_dpp v156, v16, v156 row_newbcast:12 row_mask:0xf bank_mask:0xf// 0000000040E8: 0B3938FA FF015C10
	v_mul_f32_dpp v157, v16, v157 row_newbcast:13 row_mask:0xf bank_mask:0xf// 0000000040F0: 0B3B3AFA FF015D10
	v_mul_f32_dpp v158, v16, v158 row_newbcast:14 row_mask:0xf bank_mask:0xf// 0000000040F8: 0B3D3CFA FF015E10
	v_mul_f32_dpp v159, v16, v159 row_newbcast:15 row_mask:0xf bank_mask:0xf// 000000004100: 0B3F3EFA FF015F10
	v_cvt_f32_i32_e32 v160, v160                               // 000000004108: 7F400BA0
	v_cvt_f32_i32_e32 v161, v161                               // 00000000410C: 7F420BA1
	v_cvt_f32_i32_e32 v162, v162                               // 000000004110: 7F440BA2
	v_cvt_f32_i32_e32 v163, v163                               // 000000004114: 7F460BA3
	v_mul_f32_e32 v160, v14, v160                              // 000000004118: 0B41410E
	v_mul_f32_e32 v161, v14, v161                              // 00000000411C: 0B43430E
	v_mul_f32_e32 v162, v14, v162                              // 000000004120: 0B45450E
	v_mul_f32_e32 v163, v14, v163                              // 000000004124: 0B47470E
	v_mul_f32_dpp v160, v17, v160 row_newbcast:0 row_mask:0xf bank_mask:0xf// 000000004128: 0B4140FA FF015011
	v_mul_f32_dpp v161, v17, v161 row_newbcast:1 row_mask:0xf bank_mask:0xf// 000000004130: 0B4342FA FF015111
	v_mul_f32_dpp v162, v17, v162 row_newbcast:2 row_mask:0xf bank_mask:0xf// 000000004138: 0B4544FA FF015211
	v_mul_f32_dpp v163, v17, v163 row_newbcast:3 row_mask:0xf bank_mask:0xf// 000000004140: 0B4746FA FF015311
	v_cvt_f32_i32_e32 v164, v164                               // 000000004148: 7F480BA4
	v_cvt_f32_i32_e32 v165, v165                               // 00000000414C: 7F4A0BA5
	v_cvt_f32_i32_e32 v166, v166                               // 000000004150: 7F4C0BA6
	v_cvt_f32_i32_e32 v167, v167                               // 000000004154: 7F4E0BA7
	v_mul_f32_e32 v164, v15, v164                              // 000000004158: 0B49490F
	v_mul_f32_e32 v165, v15, v165                              // 00000000415C: 0B4B4B0F
	v_mul_f32_e32 v166, v15, v166                              // 000000004160: 0B4D4D0F
	v_mul_f32_e32 v167, v15, v167                              // 000000004164: 0B4F4F0F
	v_mul_f32_dpp v164, v17, v164 row_newbcast:0 row_mask:0xf bank_mask:0xf// 000000004168: 0B4948FA FF015011
	v_mul_f32_dpp v165, v17, v165 row_newbcast:1 row_mask:0xf bank_mask:0xf// 000000004170: 0B4B4AFA FF015111
	v_mul_f32_dpp v166, v17, v166 row_newbcast:2 row_mask:0xf bank_mask:0xf// 000000004178: 0B4D4CFA FF015211
	v_mul_f32_dpp v167, v17, v167 row_newbcast:3 row_mask:0xf bank_mask:0xf// 000000004180: 0B4F4EFA FF015311
	v_cvt_f32_i32_e32 v168, v168                               // 000000004188: 7F500BA8
	v_cvt_f32_i32_e32 v169, v169                               // 00000000418C: 7F520BA9
	v_cvt_f32_i32_e32 v170, v170                               // 000000004190: 7F540BAA
	v_cvt_f32_i32_e32 v171, v171                               // 000000004194: 7F560BAB
	v_mul_f32_e32 v168, v14, v168                              // 000000004198: 0B51510E
	v_mul_f32_e32 v169, v14, v169                              // 00000000419C: 0B53530E
	v_mul_f32_e32 v170, v14, v170                              // 0000000041A0: 0B55550E
	v_mul_f32_e32 v171, v14, v171                              // 0000000041A4: 0B57570E
	v_mul_f32_dpp v168, v17, v168 row_newbcast:4 row_mask:0xf bank_mask:0xf// 0000000041A8: 0B5150FA FF015411
	v_mul_f32_dpp v169, v17, v169 row_newbcast:5 row_mask:0xf bank_mask:0xf// 0000000041B0: 0B5352FA FF015511
	v_mul_f32_dpp v170, v17, v170 row_newbcast:6 row_mask:0xf bank_mask:0xf// 0000000041B8: 0B5554FA FF015611
	v_mul_f32_dpp v171, v17, v171 row_newbcast:7 row_mask:0xf bank_mask:0xf// 0000000041C0: 0B5756FA FF015711
	v_cvt_f32_i32_e32 v172, v172                               // 0000000041C8: 7F580BAC
	v_cvt_f32_i32_e32 v173, v173                               // 0000000041CC: 7F5A0BAD
	v_cvt_f32_i32_e32 v174, v174                               // 0000000041D0: 7F5C0BAE
	v_cvt_f32_i32_e32 v175, v175                               // 0000000041D4: 7F5E0BAF
	v_mul_f32_e32 v172, v15, v172                              // 0000000041D8: 0B59590F
	v_mul_f32_e32 v173, v15, v173                              // 0000000041DC: 0B5B5B0F
	v_mul_f32_e32 v174, v15, v174                              // 0000000041E0: 0B5D5D0F
	v_mul_f32_e32 v175, v15, v175                              // 0000000041E4: 0B5F5F0F
	v_mul_f32_dpp v172, v17, v172 row_newbcast:4 row_mask:0xf bank_mask:0xf// 0000000041E8: 0B5958FA FF015411
	v_mul_f32_dpp v173, v17, v173 row_newbcast:5 row_mask:0xf bank_mask:0xf// 0000000041F0: 0B5B5AFA FF015511
	v_mul_f32_dpp v174, v17, v174 row_newbcast:6 row_mask:0xf bank_mask:0xf// 0000000041F8: 0B5D5CFA FF015611
	v_mul_f32_dpp v175, v17, v175 row_newbcast:7 row_mask:0xf bank_mask:0xf// 000000004200: 0B5F5EFA FF015711
	s_waitcnt vmcnt(20)                                        // 000000004208: BF8C4F74
	buffer_load_dwordx4 a[0:3], v40, s[12:15], 0 offen         // 00000000420C: E05C1000 80830028
	v_mul_f32_e32 v48, v128, v128                              // 000000004214: 0A610180
	v_mul_f32_e32 v49, v129, v129                              // 000000004218: 0A630381
	v_mul_f32_e32 v50, v130, v130                              // 00000000421C: 0A650582
	v_mul_f32_e32 v51, v131, v131                              // 000000004220: 0A670783
	v_fma_f32 v48, v48, s77, v1                                // 000000004224: D1CB0030 04049B30
	v_fma_f32 v49, v49, s77, v1                                // 00000000422C: D1CB0031 04049B31
	v_fma_f32 v50, v50, s77, v1                                // 000000004234: D1CB0032 04049B32
	v_fma_f32 v51, v51, s77, v1                                // 00000000423C: D1CB0033 04049B33
	v_mul_f32_e32 v48, v48, v128                               // 000000004244: 0A610130
	v_mul_f32_e32 v49, v49, v129                               // 000000004248: 0A630331
	v_mul_f32_e32 v50, v50, v130                               // 00000000424C: 0A650532
	v_mul_f32_e32 v51, v51, v131                               // 000000004250: 0A670733
	v_mul_f32_e64 v48, v48, s6                                 // 000000004254: D1050030 00000D30
	v_mul_f32_e64 v49, v49, s6                                 // 00000000425C: D1050031 00000D31
	v_mul_f32_e64 v50, v50, s6                                 // 000000004264: D1050032 00000D32
	v_mul_f32_e64 v51, v51, s6                                 // 00000000426C: D1050033 00000D33
	v_exp_f32_e32 v48, v48                                     // 000000004274: 7E604130
	v_exp_f32_e32 v49, v49                                     // 000000004278: 7E624131
	v_exp_f32_e32 v50, v50                                     // 00000000427C: 7E644132
	v_exp_f32_e32 v51, v51                                     // 000000004280: 7E664133
	buffer_load_dwordx4 a[4:7], v41, s[12:15], 0 offen         // 000000004284: E05C1000 80830429
	v_add_f32_e64 v48, v48, 1.0                                // 00000000428C: D1010030 0001E530
	v_add_f32_e64 v49, v49, 1.0                                // 000000004294: D1010031 0001E531
	v_add_f32_e64 v50, v50, 1.0                                // 00000000429C: D1010032 0001E532
	v_add_f32_e64 v51, v51, 1.0                                // 0000000042A4: D1010033 0001E533
	v_rcp_f32_e32 v48, v48                                     // 0000000042AC: 7E604530
	v_rcp_f32_e32 v49, v49                                     // 0000000042B0: 7E624531
	v_rcp_f32_e32 v50, v50                                     // 0000000042B4: 7E644532
	v_rcp_f32_e32 v51, v51                                     // 0000000042B8: 7E664533
	v_mul_f32_e32 v128, v128, v48                              // 0000000042BC: 0B006180
	v_mul_f32_e32 v129, v129, v49                              // 0000000042C0: 0B026381
	v_mul_f32_e32 v130, v130, v50                              // 0000000042C4: 0B046582
	v_mul_f32_e32 v131, v131, v51                              // 0000000042C8: 0B066783
	buffer_load_dwordx4 a[8:11], v42, s[12:15], 0 offen        // 0000000042CC: E05C1000 8083082A
	v_mul_f32_e32 v48, v132, v132                              // 0000000042D4: 0A610984
	v_mul_f32_e32 v49, v133, v133                              // 0000000042D8: 0A630B85
	v_mul_f32_e32 v50, v134, v134                              // 0000000042DC: 0A650D86
	v_mul_f32_e32 v51, v135, v135                              // 0000000042E0: 0A670F87
	v_fma_f32 v48, v48, s77, v1                                // 0000000042E4: D1CB0030 04049B30
	v_fma_f32 v49, v49, s77, v1                                // 0000000042EC: D1CB0031 04049B31
	v_fma_f32 v50, v50, s77, v1                                // 0000000042F4: D1CB0032 04049B32
	v_fma_f32 v51, v51, s77, v1                                // 0000000042FC: D1CB0033 04049B33
	v_mul_f32_e32 v48, v48, v132                               // 000000004304: 0A610930
	v_mul_f32_e32 v49, v49, v133                               // 000000004308: 0A630B31
	v_mul_f32_e32 v50, v50, v134                               // 00000000430C: 0A650D32
	v_mul_f32_e32 v51, v51, v135                               // 000000004310: 0A670F33
	v_mul_f32_e64 v48, v48, s6                                 // 000000004314: D1050030 00000D30
	v_mul_f32_e64 v49, v49, s6                                 // 00000000431C: D1050031 00000D31
	v_mul_f32_e64 v50, v50, s6                                 // 000000004324: D1050032 00000D32
	v_mul_f32_e64 v51, v51, s6                                 // 00000000432C: D1050033 00000D33
	v_exp_f32_e32 v48, v48                                     // 000000004334: 7E604130
	v_exp_f32_e32 v49, v49                                     // 000000004338: 7E624131
	v_exp_f32_e32 v50, v50                                     // 00000000433C: 7E644132
	v_exp_f32_e32 v51, v51                                     // 000000004340: 7E664133
	buffer_load_dwordx4 a[12:15], v43, s[12:15], 0 offen       // 000000004344: E05C1000 80830C2B
	s_add_u32 s12, s78, s12                                    // 00000000434C: 800C0C4E
	s_addc_u32 s13, 0, s13                                     // 000000004350: 820D0D80
	v_add_f32_e64 v48, v48, 1.0                                // 000000004354: D1010030 0001E530
	v_add_f32_e64 v49, v49, 1.0                                // 00000000435C: D1010031 0001E531
	v_add_f32_e64 v50, v50, 1.0                                // 000000004364: D1010032 0001E532
	v_add_f32_e64 v51, v51, 1.0                                // 00000000436C: D1010033 0001E533
	v_rcp_f32_e32 v48, v48                                     // 000000004374: 7E604530
	v_rcp_f32_e32 v49, v49                                     // 000000004378: 7E624531
	v_rcp_f32_e32 v50, v50                                     // 00000000437C: 7E644532
	v_rcp_f32_e32 v51, v51                                     // 000000004380: 7E664533
	v_mul_f32_e32 v132, v132, v48                              // 000000004384: 0B086184
	v_mul_f32_e32 v133, v133, v49                              // 000000004388: 0B0A6385
	v_mul_f32_e32 v134, v134, v50                              // 00000000438C: 0B0C6586
	v_mul_f32_e32 v135, v135, v51                              // 000000004390: 0B0E6787
	s_waitcnt vmcnt(20)                                        // 000000004394: BF8C4F74
	buffer_load_dwordx4 a[16:19], v40, s[12:15], 0 offen       // 000000004398: E05C1000 80831028
	v_mul_f32_e32 v48, v136, v136                              // 0000000043A0: 0A611188
	v_mul_f32_e32 v49, v137, v137                              // 0000000043A4: 0A631389
	v_mul_f32_e32 v50, v138, v138                              // 0000000043A8: 0A65158A
	v_mul_f32_e32 v51, v139, v139                              // 0000000043AC: 0A67178B
	v_fma_f32 v48, v48, s77, v1                                // 0000000043B0: D1CB0030 04049B30
	v_fma_f32 v49, v49, s77, v1                                // 0000000043B8: D1CB0031 04049B31
	v_fma_f32 v50, v50, s77, v1                                // 0000000043C0: D1CB0032 04049B32
	v_fma_f32 v51, v51, s77, v1                                // 0000000043C8: D1CB0033 04049B33
	v_mul_f32_e32 v48, v48, v136                               // 0000000043D0: 0A611130
	v_mul_f32_e32 v49, v49, v137                               // 0000000043D4: 0A631331
	v_mul_f32_e32 v50, v50, v138                               // 0000000043D8: 0A651532
	v_mul_f32_e32 v51, v51, v139                               // 0000000043DC: 0A671733
	v_mul_f32_e64 v48, v48, s6                                 // 0000000043E0: D1050030 00000D30
	v_mul_f32_e64 v49, v49, s6                                 // 0000000043E8: D1050031 00000D31
	v_mul_f32_e64 v50, v50, s6                                 // 0000000043F0: D1050032 00000D32
	v_mul_f32_e64 v51, v51, s6                                 // 0000000043F8: D1050033 00000D33
	v_exp_f32_e32 v48, v48                                     // 000000004400: 7E604130
	v_exp_f32_e32 v49, v49                                     // 000000004404: 7E624131
	v_exp_f32_e32 v50, v50                                     // 000000004408: 7E644132
	v_exp_f32_e32 v51, v51                                     // 00000000440C: 7E664133
	buffer_load_dwordx4 a[20:23], v41, s[12:15], 0 offen       // 000000004410: E05C1000 80831429
	v_add_f32_e64 v48, v48, 1.0                                // 000000004418: D1010030 0001E530
	v_add_f32_e64 v49, v49, 1.0                                // 000000004420: D1010031 0001E531
	v_add_f32_e64 v50, v50, 1.0                                // 000000004428: D1010032 0001E532
	v_add_f32_e64 v51, v51, 1.0                                // 000000004430: D1010033 0001E533
	v_rcp_f32_e32 v48, v48                                     // 000000004438: 7E604530
	v_rcp_f32_e32 v49, v49                                     // 00000000443C: 7E624531
	v_rcp_f32_e32 v50, v50                                     // 000000004440: 7E644532
	v_rcp_f32_e32 v51, v51                                     // 000000004444: 7E664533
	v_mul_f32_e32 v136, v136, v48                              // 000000004448: 0B106188
	v_mul_f32_e32 v137, v137, v49                              // 00000000444C: 0B126389
	v_mul_f32_e32 v138, v138, v50                              // 000000004450: 0B14658A
	v_mul_f32_e32 v139, v139, v51                              // 000000004454: 0B16678B
	buffer_load_dwordx4 a[24:27], v42, s[12:15], 0 offen       // 000000004458: E05C1000 8083182A
	v_mul_f32_e32 v48, v140, v140                              // 000000004460: 0A61198C
	v_mul_f32_e32 v49, v141, v141                              // 000000004464: 0A631B8D
	v_mul_f32_e32 v50, v142, v142                              // 000000004468: 0A651D8E
	v_mul_f32_e32 v51, v143, v143                              // 00000000446C: 0A671F8F
	v_fma_f32 v48, v48, s77, v1                                // 000000004470: D1CB0030 04049B30
	v_fma_f32 v49, v49, s77, v1                                // 000000004478: D1CB0031 04049B31
	v_fma_f32 v50, v50, s77, v1                                // 000000004480: D1CB0032 04049B32
	v_fma_f32 v51, v51, s77, v1                                // 000000004488: D1CB0033 04049B33
	v_mul_f32_e32 v48, v48, v140                               // 000000004490: 0A611930
	v_mul_f32_e32 v49, v49, v141                               // 000000004494: 0A631B31
	v_mul_f32_e32 v50, v50, v142                               // 000000004498: 0A651D32
	v_mul_f32_e32 v51, v51, v143                               // 00000000449C: 0A671F33
	v_mul_f32_e64 v48, v48, s6                                 // 0000000044A0: D1050030 00000D30
	v_mul_f32_e64 v49, v49, s6                                 // 0000000044A8: D1050031 00000D31
	v_mul_f32_e64 v50, v50, s6                                 // 0000000044B0: D1050032 00000D32
	v_mul_f32_e64 v51, v51, s6                                 // 0000000044B8: D1050033 00000D33
	v_exp_f32_e32 v48, v48                                     // 0000000044C0: 7E604130
	v_exp_f32_e32 v49, v49                                     // 0000000044C4: 7E624131
	v_exp_f32_e32 v50, v50                                     // 0000000044C8: 7E644132
	v_exp_f32_e32 v51, v51                                     // 0000000044CC: 7E664133
	buffer_load_dwordx4 a[28:31], v43, s[12:15], 0 offen       // 0000000044D0: E05C1000 80831C2B
	s_add_u32 s12, s78, s12                                    // 0000000044D8: 800C0C4E
	s_addc_u32 s13, 0, s13                                     // 0000000044DC: 820D0D80
	v_add_f32_e64 v48, v48, 1.0                                // 0000000044E0: D1010030 0001E530
	v_add_f32_e64 v49, v49, 1.0                                // 0000000044E8: D1010031 0001E531
	v_add_f32_e64 v50, v50, 1.0                                // 0000000044F0: D1010032 0001E532
	v_add_f32_e64 v51, v51, 1.0                                // 0000000044F8: D1010033 0001E533
	v_rcp_f32_e32 v48, v48                                     // 000000004500: 7E604530
	v_rcp_f32_e32 v49, v49                                     // 000000004504: 7E624531
	v_rcp_f32_e32 v50, v50                                     // 000000004508: 7E644532
	v_rcp_f32_e32 v51, v51                                     // 00000000450C: 7E664533
	v_mul_f32_e32 v140, v140, v48                              // 000000004510: 0B18618C
	v_mul_f32_e32 v141, v141, v49                              // 000000004514: 0B1A638D
	v_mul_f32_e32 v142, v142, v50                              // 000000004518: 0B1C658E
	v_mul_f32_e32 v143, v143, v51                              // 00000000451C: 0B1E678F
	s_waitcnt vmcnt(20)                                        // 000000004520: BF8C4F74
	buffer_load_dwordx4 a[32:35], v40, s[12:15], 0 offen       // 000000004524: E05C1000 80832028
	v_mul_f32_e32 v48, v144, v144                              // 00000000452C: 0A612190
	v_mul_f32_e32 v49, v145, v145                              // 000000004530: 0A632391
	v_mul_f32_e32 v50, v146, v146                              // 000000004534: 0A652592
	v_mul_f32_e32 v51, v147, v147                              // 000000004538: 0A672793
	v_fma_f32 v48, v48, s77, v1                                // 00000000453C: D1CB0030 04049B30
	v_fma_f32 v49, v49, s77, v1                                // 000000004544: D1CB0031 04049B31
	v_fma_f32 v50, v50, s77, v1                                // 00000000454C: D1CB0032 04049B32
	v_fma_f32 v51, v51, s77, v1                                // 000000004554: D1CB0033 04049B33
	v_mul_f32_e32 v48, v48, v144                               // 00000000455C: 0A612130
	v_mul_f32_e32 v49, v49, v145                               // 000000004560: 0A632331
	v_mul_f32_e32 v50, v50, v146                               // 000000004564: 0A652532
	v_mul_f32_e32 v51, v51, v147                               // 000000004568: 0A672733
	v_mul_f32_e64 v48, v48, s6                                 // 00000000456C: D1050030 00000D30
	v_mul_f32_e64 v49, v49, s6                                 // 000000004574: D1050031 00000D31
	v_mul_f32_e64 v50, v50, s6                                 // 00000000457C: D1050032 00000D32
	v_mul_f32_e64 v51, v51, s6                                 // 000000004584: D1050033 00000D33
	v_exp_f32_e32 v48, v48                                     // 00000000458C: 7E604130
	v_exp_f32_e32 v49, v49                                     // 000000004590: 7E624131
	v_exp_f32_e32 v50, v50                                     // 000000004594: 7E644132
	v_exp_f32_e32 v51, v51                                     // 000000004598: 7E664133
	buffer_load_dwordx4 a[36:39], v41, s[12:15], 0 offen       // 00000000459C: E05C1000 80832429
	v_add_f32_e64 v48, v48, 1.0                                // 0000000045A4: D1010030 0001E530
	v_add_f32_e64 v49, v49, 1.0                                // 0000000045AC: D1010031 0001E531
	v_add_f32_e64 v50, v50, 1.0                                // 0000000045B4: D1010032 0001E532
	v_add_f32_e64 v51, v51, 1.0                                // 0000000045BC: D1010033 0001E533
	v_rcp_f32_e32 v48, v48                                     // 0000000045C4: 7E604530
	v_rcp_f32_e32 v49, v49                                     // 0000000045C8: 7E624531
	v_rcp_f32_e32 v50, v50                                     // 0000000045CC: 7E644532
	v_rcp_f32_e32 v51, v51                                     // 0000000045D0: 7E664533
	v_mul_f32_e32 v144, v144, v48                              // 0000000045D4: 0B206190
	v_mul_f32_e32 v145, v145, v49                              // 0000000045D8: 0B226391
	v_mul_f32_e32 v146, v146, v50                              // 0000000045DC: 0B246592
	v_mul_f32_e32 v147, v147, v51                              // 0000000045E0: 0B266793
	buffer_load_dwordx4 a[40:43], v42, s[12:15], 0 offen       // 0000000045E4: E05C1000 8083282A
	v_mul_f32_e32 v48, v148, v148                              // 0000000045EC: 0A612994
	v_mul_f32_e32 v49, v149, v149                              // 0000000045F0: 0A632B95
	v_mul_f32_e32 v50, v150, v150                              // 0000000045F4: 0A652D96
	v_mul_f32_e32 v51, v151, v151                              // 0000000045F8: 0A672F97
	v_fma_f32 v48, v48, s77, v1                                // 0000000045FC: D1CB0030 04049B30
	v_fma_f32 v49, v49, s77, v1                                // 000000004604: D1CB0031 04049B31
	v_fma_f32 v50, v50, s77, v1                                // 00000000460C: D1CB0032 04049B32
	v_fma_f32 v51, v51, s77, v1                                // 000000004614: D1CB0033 04049B33
	v_mul_f32_e32 v48, v48, v148                               // 00000000461C: 0A612930
	v_mul_f32_e32 v49, v49, v149                               // 000000004620: 0A632B31
	v_mul_f32_e32 v50, v50, v150                               // 000000004624: 0A652D32
	v_mul_f32_e32 v51, v51, v151                               // 000000004628: 0A672F33
	v_mul_f32_e64 v48, v48, s6                                 // 00000000462C: D1050030 00000D30
	v_mul_f32_e64 v49, v49, s6                                 // 000000004634: D1050031 00000D31
	v_mul_f32_e64 v50, v50, s6                                 // 00000000463C: D1050032 00000D32
	v_mul_f32_e64 v51, v51, s6                                 // 000000004644: D1050033 00000D33
	v_exp_f32_e32 v48, v48                                     // 00000000464C: 7E604130
	v_exp_f32_e32 v49, v49                                     // 000000004650: 7E624131
	v_exp_f32_e32 v50, v50                                     // 000000004654: 7E644132
	v_exp_f32_e32 v51, v51                                     // 000000004658: 7E664133
	buffer_load_dwordx4 a[44:47], v43, s[12:15], 0 offen       // 00000000465C: E05C1000 80832C2B
	s_add_u32 s12, s78, s12                                    // 000000004664: 800C0C4E
	s_addc_u32 s13, 0, s13                                     // 000000004668: 820D0D80
	v_add_f32_e64 v48, v48, 1.0                                // 00000000466C: D1010030 0001E530
	v_add_f32_e64 v49, v49, 1.0                                // 000000004674: D1010031 0001E531
	v_add_f32_e64 v50, v50, 1.0                                // 00000000467C: D1010032 0001E532
	v_add_f32_e64 v51, v51, 1.0                                // 000000004684: D1010033 0001E533
	v_rcp_f32_e32 v48, v48                                     // 00000000468C: 7E604530
	v_rcp_f32_e32 v49, v49                                     // 000000004690: 7E624531
	v_rcp_f32_e32 v50, v50                                     // 000000004694: 7E644532
	v_rcp_f32_e32 v51, v51                                     // 000000004698: 7E664533
	v_mul_f32_e32 v148, v148, v48                              // 00000000469C: 0B286194
	v_mul_f32_e32 v149, v149, v49                              // 0000000046A0: 0B2A6395
	v_mul_f32_e32 v150, v150, v50                              // 0000000046A4: 0B2C6596
	v_mul_f32_e32 v151, v151, v51                              // 0000000046A8: 0B2E6797
	s_waitcnt vmcnt(20)                                        // 0000000046AC: BF8C4F74
	buffer_load_dwordx4 a[48:51], v40, s[12:15], 0 offen       // 0000000046B0: E05C1000 80833028
	v_mul_f32_e32 v48, v152, v152                              // 0000000046B8: 0A613198
	v_mul_f32_e32 v49, v153, v153                              // 0000000046BC: 0A633399
	v_mul_f32_e32 v50, v154, v154                              // 0000000046C0: 0A65359A
	v_mul_f32_e32 v51, v155, v155                              // 0000000046C4: 0A67379B
	v_fma_f32 v48, v48, s77, v1                                // 0000000046C8: D1CB0030 04049B30
	v_fma_f32 v49, v49, s77, v1                                // 0000000046D0: D1CB0031 04049B31
	v_fma_f32 v50, v50, s77, v1                                // 0000000046D8: D1CB0032 04049B32
	v_fma_f32 v51, v51, s77, v1                                // 0000000046E0: D1CB0033 04049B33
	v_mul_f32_e32 v48, v48, v152                               // 0000000046E8: 0A613130
	v_mul_f32_e32 v49, v49, v153                               // 0000000046EC: 0A633331
	v_mul_f32_e32 v50, v50, v154                               // 0000000046F0: 0A653532
	v_mul_f32_e32 v51, v51, v155                               // 0000000046F4: 0A673733
	v_mul_f32_e64 v48, v48, s6                                 // 0000000046F8: D1050030 00000D30
	v_mul_f32_e64 v49, v49, s6                                 // 000000004700: D1050031 00000D31
	v_mul_f32_e64 v50, v50, s6                                 // 000000004708: D1050032 00000D32
	v_mul_f32_e64 v51, v51, s6                                 // 000000004710: D1050033 00000D33
	v_exp_f32_e32 v48, v48                                     // 000000004718: 7E604130
	v_exp_f32_e32 v49, v49                                     // 00000000471C: 7E624131
	v_exp_f32_e32 v50, v50                                     // 000000004720: 7E644132
	v_exp_f32_e32 v51, v51                                     // 000000004724: 7E664133
	buffer_load_dwordx4 a[52:55], v41, s[12:15], 0 offen       // 000000004728: E05C1000 80833429
	v_add_f32_e64 v48, v48, 1.0                                // 000000004730: D1010030 0001E530
	v_add_f32_e64 v49, v49, 1.0                                // 000000004738: D1010031 0001E531
	v_add_f32_e64 v50, v50, 1.0                                // 000000004740: D1010032 0001E532
	v_add_f32_e64 v51, v51, 1.0                                // 000000004748: D1010033 0001E533
	v_rcp_f32_e32 v48, v48                                     // 000000004750: 7E604530
	v_rcp_f32_e32 v49, v49                                     // 000000004754: 7E624531
	v_rcp_f32_e32 v50, v50                                     // 000000004758: 7E644532
	v_rcp_f32_e32 v51, v51                                     // 00000000475C: 7E664533
	v_mul_f32_e32 v152, v152, v48                              // 000000004760: 0B306198
	v_mul_f32_e32 v153, v153, v49                              // 000000004764: 0B326399
	v_mul_f32_e32 v154, v154, v50                              // 000000004768: 0B34659A
	v_mul_f32_e32 v155, v155, v51                              // 00000000476C: 0B36679B
	buffer_load_dwordx4 a[56:59], v42, s[12:15], 0 offen       // 000000004770: E05C1000 8083382A
	v_mul_f32_e32 v48, v156, v156                              // 000000004778: 0A61399C
	v_mul_f32_e32 v49, v157, v157                              // 00000000477C: 0A633B9D
	v_mul_f32_e32 v50, v158, v158                              // 000000004780: 0A653D9E
	v_mul_f32_e32 v51, v159, v159                              // 000000004784: 0A673F9F
	v_fma_f32 v48, v48, s77, v1                                // 000000004788: D1CB0030 04049B30
	v_fma_f32 v49, v49, s77, v1                                // 000000004790: D1CB0031 04049B31
	v_fma_f32 v50, v50, s77, v1                                // 000000004798: D1CB0032 04049B32
	v_fma_f32 v51, v51, s77, v1                                // 0000000047A0: D1CB0033 04049B33
	v_mul_f32_e32 v48, v48, v156                               // 0000000047A8: 0A613930
	v_mul_f32_e32 v49, v49, v157                               // 0000000047AC: 0A633B31
	v_mul_f32_e32 v50, v50, v158                               // 0000000047B0: 0A653D32
	v_mul_f32_e32 v51, v51, v159                               // 0000000047B4: 0A673F33
	v_mul_f32_e64 v48, v48, s6                                 // 0000000047B8: D1050030 00000D30
	v_mul_f32_e64 v49, v49, s6                                 // 0000000047C0: D1050031 00000D31
	v_mul_f32_e64 v50, v50, s6                                 // 0000000047C8: D1050032 00000D32
	v_mul_f32_e64 v51, v51, s6                                 // 0000000047D0: D1050033 00000D33
	v_exp_f32_e32 v48, v48                                     // 0000000047D8: 7E604130
	v_exp_f32_e32 v49, v49                                     // 0000000047DC: 7E624131
	v_exp_f32_e32 v50, v50                                     // 0000000047E0: 7E644132
	v_exp_f32_e32 v51, v51                                     // 0000000047E4: 7E664133
	buffer_load_dwordx4 a[60:63], v43, s[12:15], 0 offen       // 0000000047E8: E05C1000 80833C2B
	s_add_u32 s12, s78, s12                                    // 0000000047F0: 800C0C4E
	s_addc_u32 s13, 0, s13                                     // 0000000047F4: 820D0D80
	v_add_f32_e64 v48, v48, 1.0                                // 0000000047F8: D1010030 0001E530
	v_add_f32_e64 v49, v49, 1.0                                // 000000004800: D1010031 0001E531
	v_add_f32_e64 v50, v50, 1.0                                // 000000004808: D1010032 0001E532
	v_add_f32_e64 v51, v51, 1.0                                // 000000004810: D1010033 0001E533
	v_rcp_f32_e32 v48, v48                                     // 000000004818: 7E604530
	v_rcp_f32_e32 v49, v49                                     // 00000000481C: 7E624531
	v_rcp_f32_e32 v50, v50                                     // 000000004820: 7E644532
	v_rcp_f32_e32 v51, v51                                     // 000000004824: 7E664533
	v_mul_f32_e32 v156, v156, v48                              // 000000004828: 0B38619C
	v_mul_f32_e32 v157, v157, v49                              // 00000000482C: 0B3A639D
	v_mul_f32_e32 v158, v158, v50                              // 000000004830: 0B3C659E
	v_mul_f32_e32 v159, v159, v51                              // 000000004834: 0B3E679F
	s_waitcnt vmcnt(20)                                        // 000000004838: BF8C4F74
	buffer_load_dwordx4 a[64:67], v40, s[12:15], 0 offen       // 00000000483C: E05C1000 80834028
	v_mul_f32_e32 v48, v160, v160                              // 000000004844: 0A6141A0
	v_mul_f32_e32 v49, v161, v161                              // 000000004848: 0A6343A1
	v_mul_f32_e32 v50, v162, v162                              // 00000000484C: 0A6545A2
	v_mul_f32_e32 v51, v163, v163                              // 000000004850: 0A6747A3
	v_fma_f32 v48, v48, s77, v1                                // 000000004854: D1CB0030 04049B30
	v_fma_f32 v49, v49, s77, v1                                // 00000000485C: D1CB0031 04049B31
	v_fma_f32 v50, v50, s77, v1                                // 000000004864: D1CB0032 04049B32
	v_fma_f32 v51, v51, s77, v1                                // 00000000486C: D1CB0033 04049B33
	v_mul_f32_e32 v48, v48, v160                               // 000000004874: 0A614130
	v_mul_f32_e32 v49, v49, v161                               // 000000004878: 0A634331
	v_mul_f32_e32 v50, v50, v162                               // 00000000487C: 0A654532
	v_mul_f32_e32 v51, v51, v163                               // 000000004880: 0A674733
	v_mul_f32_e64 v48, v48, s6                                 // 000000004884: D1050030 00000D30
	v_mul_f32_e64 v49, v49, s6                                 // 00000000488C: D1050031 00000D31
	v_mul_f32_e64 v50, v50, s6                                 // 000000004894: D1050032 00000D32
	v_mul_f32_e64 v51, v51, s6                                 // 00000000489C: D1050033 00000D33
	v_exp_f32_e32 v48, v48                                     // 0000000048A4: 7E604130
	v_exp_f32_e32 v49, v49                                     // 0000000048A8: 7E624131
	v_exp_f32_e32 v50, v50                                     // 0000000048AC: 7E644132
	v_exp_f32_e32 v51, v51                                     // 0000000048B0: 7E664133
	buffer_load_dwordx4 a[68:71], v41, s[12:15], 0 offen       // 0000000048B4: E05C1000 80834429
	v_add_f32_e64 v48, v48, 1.0                                // 0000000048BC: D1010030 0001E530
	v_add_f32_e64 v49, v49, 1.0                                // 0000000048C4: D1010031 0001E531
	v_add_f32_e64 v50, v50, 1.0                                // 0000000048CC: D1010032 0001E532
	v_add_f32_e64 v51, v51, 1.0                                // 0000000048D4: D1010033 0001E533
	v_rcp_f32_e32 v48, v48                                     // 0000000048DC: 7E604530
	v_rcp_f32_e32 v49, v49                                     // 0000000048E0: 7E624531
	v_rcp_f32_e32 v50, v50                                     // 0000000048E4: 7E644532
	v_rcp_f32_e32 v51, v51                                     // 0000000048E8: 7E664533
	v_mul_f32_e32 v160, v160, v48                              // 0000000048EC: 0B4061A0
	v_mul_f32_e32 v161, v161, v49                              // 0000000048F0: 0B4263A1
	v_mul_f32_e32 v162, v162, v50                              // 0000000048F4: 0B4465A2
	v_mul_f32_e32 v163, v163, v51                              // 0000000048F8: 0B4667A3
	buffer_load_dwordx4 a[72:75], v42, s[12:15], 0 offen       // 0000000048FC: E05C1000 8083482A
	v_mul_f32_e32 v48, v164, v164                              // 000000004904: 0A6149A4
	v_mul_f32_e32 v49, v165, v165                              // 000000004908: 0A634BA5
	v_mul_f32_e32 v50, v166, v166                              // 00000000490C: 0A654DA6
	v_mul_f32_e32 v51, v167, v167                              // 000000004910: 0A674FA7
	v_fma_f32 v48, v48, s77, v1                                // 000000004914: D1CB0030 04049B30
	v_fma_f32 v49, v49, s77, v1                                // 00000000491C: D1CB0031 04049B31
	v_fma_f32 v50, v50, s77, v1                                // 000000004924: D1CB0032 04049B32
	v_fma_f32 v51, v51, s77, v1                                // 00000000492C: D1CB0033 04049B33
	v_mul_f32_e32 v48, v48, v164                               // 000000004934: 0A614930
	v_mul_f32_e32 v49, v49, v165                               // 000000004938: 0A634B31
	v_mul_f32_e32 v50, v50, v166                               // 00000000493C: 0A654D32
	v_mul_f32_e32 v51, v51, v167                               // 000000004940: 0A674F33
	v_mul_f32_e64 v48, v48, s6                                 // 000000004944: D1050030 00000D30
	v_mul_f32_e64 v49, v49, s6                                 // 00000000494C: D1050031 00000D31
	v_mul_f32_e64 v50, v50, s6                                 // 000000004954: D1050032 00000D32
	v_mul_f32_e64 v51, v51, s6                                 // 00000000495C: D1050033 00000D33
	v_exp_f32_e32 v48, v48                                     // 000000004964: 7E604130
	v_exp_f32_e32 v49, v49                                     // 000000004968: 7E624131
	v_exp_f32_e32 v50, v50                                     // 00000000496C: 7E644132
	v_exp_f32_e32 v51, v51                                     // 000000004970: 7E664133
	buffer_load_dwordx4 a[76:79], v43, s[12:15], 0 offen       // 000000004974: E05C1000 80834C2B
	s_add_u32 s12, s78, s12                                    // 00000000497C: 800C0C4E
	s_addc_u32 s13, 0, s13                                     // 000000004980: 820D0D80
	v_add_f32_e64 v48, v48, 1.0                                // 000000004984: D1010030 0001E530
	v_add_f32_e64 v49, v49, 1.0                                // 00000000498C: D1010031 0001E531
	v_add_f32_e64 v50, v50, 1.0                                // 000000004994: D1010032 0001E532
	v_add_f32_e64 v51, v51, 1.0                                // 00000000499C: D1010033 0001E533
	v_rcp_f32_e32 v48, v48                                     // 0000000049A4: 7E604530
	v_rcp_f32_e32 v49, v49                                     // 0000000049A8: 7E624531
	v_rcp_f32_e32 v50, v50                                     // 0000000049AC: 7E644532
	v_rcp_f32_e32 v51, v51                                     // 0000000049B0: 7E664533
	v_mul_f32_e32 v164, v164, v48                              // 0000000049B4: 0B4861A4
	v_mul_f32_e32 v165, v165, v49                              // 0000000049B8: 0B4A63A5
	v_mul_f32_e32 v166, v166, v50                              // 0000000049BC: 0B4C65A6
	v_mul_f32_e32 v167, v167, v51                              // 0000000049C0: 0B4E67A7
	s_waitcnt vmcnt(20)                                        // 0000000049C4: BF8C4F74
	buffer_load_dwordx4 a[80:83], v40, s[12:15], 0 offen       // 0000000049C8: E05C1000 80835028
	v_mul_f32_e32 v48, v168, v168                              // 0000000049D0: 0A6151A8
	v_mul_f32_e32 v49, v169, v169                              // 0000000049D4: 0A6353A9
	v_mul_f32_e32 v50, v170, v170                              // 0000000049D8: 0A6555AA
	v_mul_f32_e32 v51, v171, v171                              // 0000000049DC: 0A6757AB
	v_fma_f32 v48, v48, s77, v1                                // 0000000049E0: D1CB0030 04049B30
	v_fma_f32 v49, v49, s77, v1                                // 0000000049E8: D1CB0031 04049B31
	v_fma_f32 v50, v50, s77, v1                                // 0000000049F0: D1CB0032 04049B32
	v_fma_f32 v51, v51, s77, v1                                // 0000000049F8: D1CB0033 04049B33
	v_mul_f32_e32 v48, v48, v168                               // 000000004A00: 0A615130
	v_mul_f32_e32 v49, v49, v169                               // 000000004A04: 0A635331
	v_mul_f32_e32 v50, v50, v170                               // 000000004A08: 0A655532
	v_mul_f32_e32 v51, v51, v171                               // 000000004A0C: 0A675733
	v_mul_f32_e64 v48, v48, s6                                 // 000000004A10: D1050030 00000D30
	v_mul_f32_e64 v49, v49, s6                                 // 000000004A18: D1050031 00000D31
	v_mul_f32_e64 v50, v50, s6                                 // 000000004A20: D1050032 00000D32
	v_mul_f32_e64 v51, v51, s6                                 // 000000004A28: D1050033 00000D33
	v_exp_f32_e32 v48, v48                                     // 000000004A30: 7E604130
	v_exp_f32_e32 v49, v49                                     // 000000004A34: 7E624131
	v_exp_f32_e32 v50, v50                                     // 000000004A38: 7E644132
	v_exp_f32_e32 v51, v51                                     // 000000004A3C: 7E664133
	buffer_load_dwordx4 a[84:87], v41, s[12:15], 0 offen       // 000000004A40: E05C1000 80835429
	v_add_f32_e64 v48, v48, 1.0                                // 000000004A48: D1010030 0001E530
	v_add_f32_e64 v49, v49, 1.0                                // 000000004A50: D1010031 0001E531
	v_add_f32_e64 v50, v50, 1.0                                // 000000004A58: D1010032 0001E532
	v_add_f32_e64 v51, v51, 1.0                                // 000000004A60: D1010033 0001E533
	v_rcp_f32_e32 v48, v48                                     // 000000004A68: 7E604530
	v_rcp_f32_e32 v49, v49                                     // 000000004A6C: 7E624531
	v_rcp_f32_e32 v50, v50                                     // 000000004A70: 7E644532
	v_rcp_f32_e32 v51, v51                                     // 000000004A74: 7E664533
	v_mul_f32_e32 v168, v168, v48                              // 000000004A78: 0B5061A8
	v_mul_f32_e32 v169, v169, v49                              // 000000004A7C: 0B5263A9
	v_mul_f32_e32 v170, v170, v50                              // 000000004A80: 0B5465AA
	v_mul_f32_e32 v171, v171, v51                              // 000000004A84: 0B5667AB
	buffer_load_dwordx4 a[88:91], v42, s[12:15], 0 offen       // 000000004A88: E05C1000 8083582A
	v_mul_f32_e32 v48, v172, v172                              // 000000004A90: 0A6159AC
	v_mul_f32_e32 v49, v173, v173                              // 000000004A94: 0A635BAD
	v_mul_f32_e32 v50, v174, v174                              // 000000004A98: 0A655DAE
	v_mul_f32_e32 v51, v175, v175                              // 000000004A9C: 0A675FAF
	v_fma_f32 v48, v48, s77, v1                                // 000000004AA0: D1CB0030 04049B30
	v_fma_f32 v49, v49, s77, v1                                // 000000004AA8: D1CB0031 04049B31
	v_fma_f32 v50, v50, s77, v1                                // 000000004AB0: D1CB0032 04049B32
	v_fma_f32 v51, v51, s77, v1                                // 000000004AB8: D1CB0033 04049B33
	v_mul_f32_e32 v48, v48, v172                               // 000000004AC0: 0A615930
	v_mul_f32_e32 v49, v49, v173                               // 000000004AC4: 0A635B31
	v_mul_f32_e32 v50, v50, v174                               // 000000004AC8: 0A655D32
	v_mul_f32_e32 v51, v51, v175                               // 000000004ACC: 0A675F33
	v_mul_f32_e64 v48, v48, s6                                 // 000000004AD0: D1050030 00000D30
	v_mul_f32_e64 v49, v49, s6                                 // 000000004AD8: D1050031 00000D31
	v_mul_f32_e64 v50, v50, s6                                 // 000000004AE0: D1050032 00000D32
	v_mul_f32_e64 v51, v51, s6                                 // 000000004AE8: D1050033 00000D33
	v_exp_f32_e32 v48, v48                                     // 000000004AF0: 7E604130
	v_exp_f32_e32 v49, v49                                     // 000000004AF4: 7E624131
	v_exp_f32_e32 v50, v50                                     // 000000004AF8: 7E644132
	v_exp_f32_e32 v51, v51                                     // 000000004AFC: 7E664133
	buffer_load_dwordx4 a[92:95], v43, s[12:15], 0 offen       // 000000004B00: E05C1000 80835C2B
	v_add_f32_e64 v48, v48, 1.0                                // 000000004B08: D1010030 0001E530
	v_add_f32_e64 v49, v49, 1.0                                // 000000004B10: D1010031 0001E531
	v_add_f32_e64 v50, v50, 1.0                                // 000000004B18: D1010032 0001E532
	v_add_f32_e64 v51, v51, 1.0                                // 000000004B20: D1010033 0001E533
	v_rcp_f32_e32 v48, v48                                     // 000000004B28: 7E604530
	v_rcp_f32_e32 v49, v49                                     // 000000004B2C: 7E624531
	v_rcp_f32_e32 v50, v50                                     // 000000004B30: 7E644532
	v_rcp_f32_e32 v51, v51                                     // 000000004B34: 7E664533
	v_mul_f32_e32 v172, v172, v48                              // 000000004B38: 0B5861AC
	v_mul_f32_e32 v173, v173, v49                              // 000000004B3C: 0B5A63AD
	v_mul_f32_e32 v174, v174, v50                              // 000000004B40: 0B5C65AE
	v_mul_f32_e32 v175, v175, v51                              // 000000004B44: 0B5E67AF
	v_mul_f32_dpp v128, v18, v128 row_newbcast:0 row_mask:0xf bank_mask:0xf// 000000004B48: 0B0100FA FF015012
	v_mul_f32_dpp v129, v18, v129 row_newbcast:1 row_mask:0xf bank_mask:0xf// 000000004B50: 0B0302FA FF015112
	v_mul_f32_dpp v130, v18, v130 row_newbcast:2 row_mask:0xf bank_mask:0xf// 000000004B58: 0B0504FA FF015212
	v_mul_f32_dpp v131, v18, v131 row_newbcast:3 row_mask:0xf bank_mask:0xf// 000000004B60: 0B0706FA FF015312
	v_mul_f32_dpp v132, v18, v132 row_newbcast:0 row_mask:0xf bank_mask:0xf// 000000004B68: 0B0908FA FF015012
	v_mul_f32_dpp v133, v18, v133 row_newbcast:1 row_mask:0xf bank_mask:0xf// 000000004B70: 0B0B0AFA FF015112
	v_mul_f32_dpp v134, v18, v134 row_newbcast:2 row_mask:0xf bank_mask:0xf// 000000004B78: 0B0D0CFA FF015212
	v_mul_f32_dpp v135, v18, v135 row_newbcast:3 row_mask:0xf bank_mask:0xf// 000000004B80: 0B0F0EFA FF015312
	v_mul_f32_dpp v136, v18, v136 row_newbcast:4 row_mask:0xf bank_mask:0xf// 000000004B88: 0B1110FA FF015412
	v_mul_f32_dpp v137, v18, v137 row_newbcast:5 row_mask:0xf bank_mask:0xf// 000000004B90: 0B1312FA FF015512
	v_mul_f32_dpp v138, v18, v138 row_newbcast:6 row_mask:0xf bank_mask:0xf// 000000004B98: 0B1514FA FF015612
	v_mul_f32_dpp v139, v18, v139 row_newbcast:7 row_mask:0xf bank_mask:0xf// 000000004BA0: 0B1716FA FF015712
	v_mul_f32_dpp v140, v18, v140 row_newbcast:4 row_mask:0xf bank_mask:0xf// 000000004BA8: 0B1918FA FF015412
	v_mul_f32_dpp v141, v18, v141 row_newbcast:5 row_mask:0xf bank_mask:0xf// 000000004BB0: 0B1B1AFA FF015512
	v_mul_f32_dpp v142, v18, v142 row_newbcast:6 row_mask:0xf bank_mask:0xf// 000000004BB8: 0B1D1CFA FF015612
	v_mul_f32_dpp v143, v18, v143 row_newbcast:7 row_mask:0xf bank_mask:0xf// 000000004BC0: 0B1F1EFA FF015712
	v_mul_f32_dpp v144, v18, v144 row_newbcast:8 row_mask:0xf bank_mask:0xf// 000000004BC8: 0B2120FA FF015812
	v_mul_f32_dpp v145, v18, v145 row_newbcast:9 row_mask:0xf bank_mask:0xf// 000000004BD0: 0B2322FA FF015912
	v_mul_f32_dpp v146, v18, v146 row_newbcast:10 row_mask:0xf bank_mask:0xf// 000000004BD8: 0B2524FA FF015A12
	v_mul_f32_dpp v147, v18, v147 row_newbcast:11 row_mask:0xf bank_mask:0xf// 000000004BE0: 0B2726FA FF015B12
	v_mul_f32_dpp v148, v18, v148 row_newbcast:8 row_mask:0xf bank_mask:0xf// 000000004BE8: 0B2928FA FF015812
	v_mul_f32_dpp v149, v18, v149 row_newbcast:9 row_mask:0xf bank_mask:0xf// 000000004BF0: 0B2B2AFA FF015912
	v_mul_f32_dpp v150, v18, v150 row_newbcast:10 row_mask:0xf bank_mask:0xf// 000000004BF8: 0B2D2CFA FF015A12
	v_mul_f32_dpp v151, v18, v151 row_newbcast:11 row_mask:0xf bank_mask:0xf// 000000004C00: 0B2F2EFA FF015B12
	v_mul_f32_dpp v152, v18, v152 row_newbcast:12 row_mask:0xf bank_mask:0xf// 000000004C08: 0B3130FA FF015C12
	v_mul_f32_dpp v153, v18, v153 row_newbcast:13 row_mask:0xf bank_mask:0xf// 000000004C10: 0B3332FA FF015D12
	v_mul_f32_dpp v154, v18, v154 row_newbcast:14 row_mask:0xf bank_mask:0xf// 000000004C18: 0B3534FA FF015E12
	v_mul_f32_dpp v155, v18, v155 row_newbcast:15 row_mask:0xf bank_mask:0xf// 000000004C20: 0B3736FA FF015F12
	v_mul_f32_dpp v156, v18, v156 row_newbcast:12 row_mask:0xf bank_mask:0xf// 000000004C28: 0B3938FA FF015C12
	v_mul_f32_dpp v157, v18, v157 row_newbcast:13 row_mask:0xf bank_mask:0xf// 000000004C30: 0B3B3AFA FF015D12
	v_mul_f32_dpp v158, v18, v158 row_newbcast:14 row_mask:0xf bank_mask:0xf// 000000004C38: 0B3D3CFA FF015E12
	v_mul_f32_dpp v159, v18, v159 row_newbcast:15 row_mask:0xf bank_mask:0xf// 000000004C40: 0B3F3EFA FF015F12
	v_mul_f32_dpp v160, v19, v160 row_newbcast:0 row_mask:0xf bank_mask:0xf// 000000004C48: 0B4140FA FF015013
	v_mul_f32_dpp v161, v19, v161 row_newbcast:1 row_mask:0xf bank_mask:0xf// 000000004C50: 0B4342FA FF015113
	v_mul_f32_dpp v162, v19, v162 row_newbcast:2 row_mask:0xf bank_mask:0xf// 000000004C58: 0B4544FA FF015213
	v_mul_f32_dpp v163, v19, v163 row_newbcast:3 row_mask:0xf bank_mask:0xf// 000000004C60: 0B4746FA FF015313
	v_mul_f32_dpp v164, v19, v164 row_newbcast:0 row_mask:0xf bank_mask:0xf// 000000004C68: 0B4948FA FF015013
	v_mul_f32_dpp v165, v19, v165 row_newbcast:1 row_mask:0xf bank_mask:0xf// 000000004C70: 0B4B4AFA FF015113
	v_mul_f32_dpp v166, v19, v166 row_newbcast:2 row_mask:0xf bank_mask:0xf// 000000004C78: 0B4D4CFA FF015213
	v_mul_f32_dpp v167, v19, v167 row_newbcast:3 row_mask:0xf bank_mask:0xf// 000000004C80: 0B4F4EFA FF015313
	v_mul_f32_dpp v168, v19, v168 row_newbcast:4 row_mask:0xf bank_mask:0xf// 000000004C88: 0B5150FA FF015413
	v_mul_f32_dpp v169, v19, v169 row_newbcast:5 row_mask:0xf bank_mask:0xf// 000000004C90: 0B5352FA FF015513
	v_mul_f32_dpp v170, v19, v170 row_newbcast:6 row_mask:0xf bank_mask:0xf// 000000004C98: 0B5554FA FF015613
	v_mul_f32_dpp v171, v19, v171 row_newbcast:7 row_mask:0xf bank_mask:0xf// 000000004CA0: 0B5756FA FF015713
	v_mul_f32_dpp v172, v19, v172 row_newbcast:4 row_mask:0xf bank_mask:0xf// 000000004CA8: 0B5958FA FF015413
	v_mul_f32_dpp v173, v19, v173 row_newbcast:5 row_mask:0xf bank_mask:0xf// 000000004CB0: 0B5B5AFA FF015513
	v_mul_f32_dpp v174, v19, v174 row_newbcast:6 row_mask:0xf bank_mask:0xf// 000000004CB8: 0B5D5CFA FF015613
	v_mul_f32_dpp v175, v19, v175 row_newbcast:7 row_mask:0xf bank_mask:0xf// 000000004CC0: 0B5F5EFA FF015713
	buffer_load_dword v12, v5, s[16:19], 0 offen               // 000000004CC8: E0501000 80040C05
	v_mov_b32_e32 v22, 0x358637bd                              // 000000004CD0: 7E2C02FF 358637BD
	v_mov_b32_e32 v23, 0x358637bd                              // 000000004CD8: 7E2E02FF 358637BD
	v_max3_f32 v22, |v128|, |v129|, v22                        // 000000004CE0: D1D30316 045B0380
	v_max3_f32 v22, |v130|, |v131|, v22                        // 000000004CE8: D1D30316 045B0782
	v_max3_f32 v23, |v132|, |v133|, v23                        // 000000004CF0: D1D30317 045F0B84
	v_max3_f32 v23, |v134|, |v135|, v23                        // 000000004CF8: D1D30317 045F0F86
	v_max3_f32 v22, |v136|, |v137|, v22                        // 000000004D00: D1D30316 045B1388
	v_max3_f32 v22, |v138|, |v139|, v22                        // 000000004D08: D1D30316 045B178A
	v_max3_f32 v23, |v140|, |v141|, v23                        // 000000004D10: D1D30317 045F1B8C
	v_max3_f32 v23, |v142|, |v143|, v23                        // 000000004D18: D1D30317 045F1F8E
	v_max3_f32 v22, |v144|, |v145|, v22                        // 000000004D20: D1D30316 045B2390
	v_max3_f32 v22, |v146|, |v147|, v22                        // 000000004D28: D1D30316 045B2792
	v_max3_f32 v23, |v148|, |v149|, v23                        // 000000004D30: D1D30317 045F2B94
	v_max3_f32 v23, |v150|, |v151|, v23                        // 000000004D38: D1D30317 045F2F96
	v_max3_f32 v22, |v152|, |v153|, v22                        // 000000004D40: D1D30316 045B3398
	v_max3_f32 v22, |v154|, |v155|, v22                        // 000000004D48: D1D30316 045B379A
	v_max3_f32 v23, |v156|, |v157|, v23                        // 000000004D50: D1D30317 045F3B9C
	v_max3_f32 v23, |v158|, |v159|, v23                        // 000000004D58: D1D30317 045F3F9E
	v_max3_f32 v22, |v160|, |v161|, v22                        // 000000004D60: D1D30316 045B43A0
	v_max3_f32 v22, |v162|, |v163|, v22                        // 000000004D68: D1D30316 045B47A2
	v_max3_f32 v23, |v164|, |v165|, v23                        // 000000004D70: D1D30317 045F4BA4
	v_max3_f32 v23, |v166|, |v167|, v23                        // 000000004D78: D1D30317 045F4FA6
	v_max3_f32 v22, |v168|, |v169|, v22                        // 000000004D80: D1D30316 045B53A8
	v_max3_f32 v22, |v170|, |v171|, v22                        // 000000004D88: D1D30316 045B57AA
	v_max3_f32 v23, |v172|, |v173|, v23                        // 000000004D90: D1D30317 045F5BAC
	v_max3_f32 v23, |v174|, |v175|, v23                        // 000000004D98: D1D30317 045F5FAE
	v_lshlrev_b32_e32 v48, 3, v0                               // 000000004DA0: 24600083
	s_mul_i32 s60, 0x200, s7                                   // 000000004DA4: 923C07FF 00000200
	v_add_u32_e32 v48, s60, v48                                // 000000004DAC: 6860603C
	ds_write_b64 v48, v[22:23] offset:16640                    // 000000004DB0: D89A4100 00001630
	s_waitcnt lgkmcnt(0)                                       // 000000004DB8: BF8CC07F
	s_barrier                                                  // 000000004DBC: BF8A0000
	v_and_b32_e32 v48, 15, v0                                  // 000000004DC0: 2660008F
	v_lshlrev_b32_e32 v48, 3, v48                              // 000000004DC4: 24606083
	ds_read_b64 v[96:97], v48 offset:16640                     // 000000004DC8: D8EC4100 60000030
	ds_read_b64 v[98:99], v48 offset:16768                     // 000000004DD0: D8EC4180 62000030
	ds_read_b64 v[100:101], v48 offset:16896                   // 000000004DD8: D8EC4200 64000030
	ds_read_b64 v[102:103], v48 offset:17024                   // 000000004DE0: D8EC4280 66000030
	ds_read_b64 v[104:105], v48 offset:17152                   // 000000004DE8: D8EC4300 68000030
	ds_read_b64 v[106:107], v48 offset:17280                   // 000000004DF0: D8EC4380 6A000030
	ds_read_b64 v[108:109], v48 offset:17408                   // 000000004DF8: D8EC4400 6C000030
	ds_read_b64 v[110:111], v48 offset:17536                   // 000000004E00: D8EC4480 6E000030
	ds_read_b64 v[112:113], v48 offset:17664                   // 000000004E08: D8EC4500 70000030
	ds_read_b64 v[114:115], v48 offset:17792                   // 000000004E10: D8EC4580 72000030
	ds_read_b64 v[116:117], v48 offset:17920                   // 000000004E18: D8EC4600 74000030
	ds_read_b64 v[118:119], v48 offset:18048                   // 000000004E20: D8EC4680 76000030
	ds_read_b64 v[120:121], v48 offset:18176                   // 000000004E28: D8EC4700 78000030
	ds_read_b64 v[122:123], v48 offset:18304                   // 000000004E30: D8EC4780 7A000030
	ds_read_b64 v[124:125], v48 offset:18432                   // 000000004E38: D8EC4800 7C000030
	ds_read_b64 v[126:127], v48 offset:18560                   // 000000004E40: D8EC4880 7E000030
	s_waitcnt lgkmcnt(0)                                       // 000000004E48: BF8CC07F
	v_max3_f32 v22, |v96|, |v98|, v22                          // 000000004E4C: D1D30316 045AC560
	v_max3_f32 v23, |v97|, |v99|, v23                          // 000000004E54: D1D30317 045EC761
	v_max3_f32 v22, |v100|, |v102|, v22                        // 000000004E5C: D1D30316 045ACD64
	v_max3_f32 v23, |v101|, |v103|, v23                        // 000000004E64: D1D30317 045ECF65
	v_max3_f32 v22, |v104|, |v106|, v22                        // 000000004E6C: D1D30316 045AD568
	v_max3_f32 v23, |v105|, |v107|, v23                        // 000000004E74: D1D30317 045ED769
	v_max3_f32 v22, |v108|, |v110|, v22                        // 000000004E7C: D1D30316 045ADD6C
	v_max3_f32 v23, |v109|, |v111|, v23                        // 000000004E84: D1D30317 045EDF6D
	v_max3_f32 v22, |v112|, |v114|, v22                        // 000000004E8C: D1D30316 045AE570
	v_max3_f32 v23, |v113|, |v115|, v23                        // 000000004E94: D1D30317 045EE771
	v_max3_f32 v22, |v116|, |v118|, v22                        // 000000004E9C: D1D30316 045AED74
	v_max3_f32 v23, |v117|, |v119|, v23                        // 000000004EA4: D1D30317 045EEF75
	v_max3_f32 v22, |v120|, |v122|, v22                        // 000000004EAC: D1D30316 045AF578
	v_max3_f32 v23, |v121|, |v123|, v23                        // 000000004EB4: D1D30317 045EF779
	v_max3_f32 v22, |v124|, |v126|, v22                        // 000000004EBC: D1D30316 045AFD7C
	v_max3_f32 v23, |v125|, |v127|, v23                        // 000000004EC4: D1D30317 045EFF7D
	v_rcp_f32_e32 v22, v22                                     // 000000004ECC: 7E2C4516
	v_rcp_f32_e32 v23, v23                                     // 000000004ED0: 7E2E4517
	v_mul_f32_e32 v22, 0x42fe0000, v22                         // 000000004ED4: 0A2C2CFF 42FE0000
	v_mul_f32_e32 v23, 0x42fe0000, v23                         // 000000004EDC: 0A2E2EFF 42FE0000
	v_mul_f32_e32 v128, v22, v128                              // 000000004EE4: 0B010116
	v_mul_f32_e32 v129, v22, v129                              // 000000004EE8: 0B030316
	v_mul_f32_e32 v130, v22, v130                              // 000000004EEC: 0B050516
	v_mul_f32_e32 v131, v22, v131                              // 000000004EF0: 0B070716
	v_cvt_i32_f32_e32 v128, v128                               // 000000004EF4: 7F001180
	v_cvt_i32_f32_e32 v129, v129                               // 000000004EF8: 7F021181
	v_cvt_i32_f32_e32 v130, v130                               // 000000004EFC: 7F041182
	v_cvt_i32_f32_e32 v131, v131                               // 000000004F00: 7F061183
	v_perm_b32 v128, v129, v128, s53                           // 000000004F04: D1ED0080 00D70181
	v_perm_b32 v128, v130, v128, s54                           // 000000004F0C: D1ED0080 00DB0182
	v_perm_b32 v128, v131, v128, s55                           // 000000004F14: D1ED0080 00DF0183
	v_mul_f32_e32 v132, v23, v132                              // 000000004F1C: 0B090917
	v_mul_f32_e32 v133, v23, v133                              // 000000004F20: 0B0B0B17
	v_mul_f32_e32 v134, v23, v134                              // 000000004F24: 0B0D0D17
	v_mul_f32_e32 v135, v23, v135                              // 000000004F28: 0B0F0F17
	v_cvt_i32_f32_e32 v132, v132                               // 000000004F2C: 7F081184
	v_cvt_i32_f32_e32 v133, v133                               // 000000004F30: 7F0A1185
	v_cvt_i32_f32_e32 v134, v134                               // 000000004F34: 7F0C1186
	v_cvt_i32_f32_e32 v135, v135                               // 000000004F38: 7F0E1187
	v_perm_b32 v129, v133, v132, s53                           // 000000004F3C: D1ED0081 00D70985
	v_perm_b32 v129, v134, v129, s54                           // 000000004F44: D1ED0081 00DB0386
	v_perm_b32 v129, v135, v129, s55                           // 000000004F4C: D1ED0081 00DF0387
	v_mul_f32_e32 v136, v22, v136                              // 000000004F54: 0B111116
	v_mul_f32_e32 v137, v22, v137                              // 000000004F58: 0B131316
	v_mul_f32_e32 v138, v22, v138                              // 000000004F5C: 0B151516
	v_mul_f32_e32 v139, v22, v139                              // 000000004F60: 0B171716
	v_cvt_i32_f32_e32 v136, v136                               // 000000004F64: 7F101188
	v_cvt_i32_f32_e32 v137, v137                               // 000000004F68: 7F121189
	v_cvt_i32_f32_e32 v138, v138                               // 000000004F6C: 7F14118A
	v_cvt_i32_f32_e32 v139, v139                               // 000000004F70: 7F16118B
	v_perm_b32 v130, v137, v136, s53                           // 000000004F74: D1ED0082 00D71189
	v_perm_b32 v130, v138, v130, s54                           // 000000004F7C: D1ED0082 00DB058A
	v_perm_b32 v130, v139, v130, s55                           // 000000004F84: D1ED0082 00DF058B
	v_mul_f32_e32 v140, v23, v140                              // 000000004F8C: 0B191917
	v_mul_f32_e32 v141, v23, v141                              // 000000004F90: 0B1B1B17
	v_mul_f32_e32 v142, v23, v142                              // 000000004F94: 0B1D1D17
	v_mul_f32_e32 v143, v23, v143                              // 000000004F98: 0B1F1F17
	v_cvt_i32_f32_e32 v140, v140                               // 000000004F9C: 7F18118C
	v_cvt_i32_f32_e32 v141, v141                               // 000000004FA0: 7F1A118D
	v_cvt_i32_f32_e32 v142, v142                               // 000000004FA4: 7F1C118E
	v_cvt_i32_f32_e32 v143, v143                               // 000000004FA8: 7F1E118F
	v_perm_b32 v131, v141, v140, s53                           // 000000004FAC: D1ED0083 00D7198D
	v_perm_b32 v131, v142, v131, s54                           // 000000004FB4: D1ED0083 00DB078E
	v_perm_b32 v131, v143, v131, s55                           // 000000004FBC: D1ED0083 00DF078F
	v_mul_f32_e32 v144, v22, v144                              // 000000004FC4: 0B212116
	v_mul_f32_e32 v145, v22, v145                              // 000000004FC8: 0B232316
	v_mul_f32_e32 v146, v22, v146                              // 000000004FCC: 0B252516
	v_mul_f32_e32 v147, v22, v147                              // 000000004FD0: 0B272716
	v_cvt_i32_f32_e32 v144, v144                               // 000000004FD4: 7F201190
	v_cvt_i32_f32_e32 v145, v145                               // 000000004FD8: 7F221191
	v_cvt_i32_f32_e32 v146, v146                               // 000000004FDC: 7F241192
	v_cvt_i32_f32_e32 v147, v147                               // 000000004FE0: 7F261193
	v_perm_b32 v132, v145, v144, s53                           // 000000004FE4: D1ED0084 00D72191
	v_perm_b32 v132, v146, v132, s54                           // 000000004FEC: D1ED0084 00DB0992
	v_perm_b32 v132, v147, v132, s55                           // 000000004FF4: D1ED0084 00DF0993
	v_mul_f32_e32 v148, v23, v148                              // 000000004FFC: 0B292917
	v_mul_f32_e32 v149, v23, v149                              // 000000005000: 0B2B2B17
	v_mul_f32_e32 v150, v23, v150                              // 000000005004: 0B2D2D17
	v_mul_f32_e32 v151, v23, v151                              // 000000005008: 0B2F2F17
	v_cvt_i32_f32_e32 v148, v148                               // 00000000500C: 7F281194
	v_cvt_i32_f32_e32 v149, v149                               // 000000005010: 7F2A1195
	v_cvt_i32_f32_e32 v150, v150                               // 000000005014: 7F2C1196
	v_cvt_i32_f32_e32 v151, v151                               // 000000005018: 7F2E1197
	v_perm_b32 v133, v149, v148, s53                           // 00000000501C: D1ED0085 00D72995
	v_perm_b32 v133, v150, v133, s54                           // 000000005024: D1ED0085 00DB0B96
	v_perm_b32 v133, v151, v133, s55                           // 00000000502C: D1ED0085 00DF0B97
	v_mul_f32_e32 v152, v22, v152                              // 000000005034: 0B313116
	v_mul_f32_e32 v153, v22, v153                              // 000000005038: 0B333316
	v_mul_f32_e32 v154, v22, v154                              // 00000000503C: 0B353516
	v_mul_f32_e32 v155, v22, v155                              // 000000005040: 0B373716
	v_cvt_i32_f32_e32 v152, v152                               // 000000005044: 7F301198
	v_cvt_i32_f32_e32 v153, v153                               // 000000005048: 7F321199
	v_cvt_i32_f32_e32 v154, v154                               // 00000000504C: 7F34119A
	v_cvt_i32_f32_e32 v155, v155                               // 000000005050: 7F36119B
	v_perm_b32 v134, v153, v152, s53                           // 000000005054: D1ED0086 00D73199
	v_perm_b32 v134, v154, v134, s54                           // 00000000505C: D1ED0086 00DB0D9A
	v_perm_b32 v134, v155, v134, s55                           // 000000005064: D1ED0086 00DF0D9B
	v_mul_f32_e32 v156, v23, v156                              // 00000000506C: 0B393917
	v_mul_f32_e32 v157, v23, v157                              // 000000005070: 0B3B3B17
	v_mul_f32_e32 v158, v23, v158                              // 000000005074: 0B3D3D17
	v_mul_f32_e32 v159, v23, v159                              // 000000005078: 0B3F3F17
	v_cvt_i32_f32_e32 v156, v156                               // 00000000507C: 7F38119C
	v_cvt_i32_f32_e32 v157, v157                               // 000000005080: 7F3A119D
	v_cvt_i32_f32_e32 v158, v158                               // 000000005084: 7F3C119E
	v_cvt_i32_f32_e32 v159, v159                               // 000000005088: 7F3E119F
	v_perm_b32 v135, v157, v156, s53                           // 00000000508C: D1ED0087 00D7399D
	v_perm_b32 v135, v158, v135, s54                           // 000000005094: D1ED0087 00DB0F9E
	v_perm_b32 v135, v159, v135, s55                           // 00000000509C: D1ED0087 00DF0F9F
	v_mul_f32_e32 v160, v22, v160                              // 0000000050A4: 0B414116
	v_mul_f32_e32 v161, v22, v161                              // 0000000050A8: 0B434316
	v_mul_f32_e32 v162, v22, v162                              // 0000000050AC: 0B454516
	v_mul_f32_e32 v163, v22, v163                              // 0000000050B0: 0B474716
	v_cvt_i32_f32_e32 v160, v160                               // 0000000050B4: 7F4011A0
	v_cvt_i32_f32_e32 v161, v161                               // 0000000050B8: 7F4211A1
	v_cvt_i32_f32_e32 v162, v162                               // 0000000050BC: 7F4411A2
	v_cvt_i32_f32_e32 v163, v163                               // 0000000050C0: 7F4611A3
	v_perm_b32 v136, v161, v160, s53                           // 0000000050C4: D1ED0088 00D741A1
	v_perm_b32 v136, v162, v136, s54                           // 0000000050CC: D1ED0088 00DB11A2
	v_perm_b32 v136, v163, v136, s55                           // 0000000050D4: D1ED0088 00DF11A3
	v_mul_f32_e32 v164, v23, v164                              // 0000000050DC: 0B494917
	v_mul_f32_e32 v165, v23, v165                              // 0000000050E0: 0B4B4B17
	v_mul_f32_e32 v166, v23, v166                              // 0000000050E4: 0B4D4D17
	v_mul_f32_e32 v167, v23, v167                              // 0000000050E8: 0B4F4F17
	v_cvt_i32_f32_e32 v164, v164                               // 0000000050EC: 7F4811A4
	v_cvt_i32_f32_e32 v165, v165                               // 0000000050F0: 7F4A11A5
	v_cvt_i32_f32_e32 v166, v166                               // 0000000050F4: 7F4C11A6
	v_cvt_i32_f32_e32 v167, v167                               // 0000000050F8: 7F4E11A7
	v_perm_b32 v137, v165, v164, s53                           // 0000000050FC: D1ED0089 00D749A5
	v_perm_b32 v137, v166, v137, s54                           // 000000005104: D1ED0089 00DB13A6
	v_perm_b32 v137, v167, v137, s55                           // 00000000510C: D1ED0089 00DF13A7
	v_mul_f32_e32 v168, v22, v168                              // 000000005114: 0B515116
	v_mul_f32_e32 v169, v22, v169                              // 000000005118: 0B535316
	v_mul_f32_e32 v170, v22, v170                              // 00000000511C: 0B555516
	v_mul_f32_e32 v171, v22, v171                              // 000000005120: 0B575716
	v_cvt_i32_f32_e32 v168, v168                               // 000000005124: 7F5011A8
	v_cvt_i32_f32_e32 v169, v169                               // 000000005128: 7F5211A9
	v_cvt_i32_f32_e32 v170, v170                               // 00000000512C: 7F5411AA
	v_cvt_i32_f32_e32 v171, v171                               // 000000005130: 7F5611AB
	v_perm_b32 v138, v169, v168, s53                           // 000000005134: D1ED008A 00D751A9
	v_perm_b32 v138, v170, v138, s54                           // 00000000513C: D1ED008A 00DB15AA
	v_perm_b32 v138, v171, v138, s55                           // 000000005144: D1ED008A 00DF15AB
	v_mul_f32_e32 v172, v23, v172                              // 00000000514C: 0B595917
	v_mul_f32_e32 v173, v23, v173                              // 000000005150: 0B5B5B17
	v_mul_f32_e32 v174, v23, v174                              // 000000005154: 0B5D5D17
	v_mul_f32_e32 v175, v23, v175                              // 000000005158: 0B5F5F17
	v_cvt_i32_f32_e32 v172, v172                               // 00000000515C: 7F5811AC
	v_cvt_i32_f32_e32 v173, v173                               // 000000005160: 7F5A11AD
	v_cvt_i32_f32_e32 v174, v174                               // 000000005164: 7F5C11AE
	v_cvt_i32_f32_e32 v175, v175                               // 000000005168: 7F5E11AF
	v_perm_b32 v139, v173, v172, s53                           // 00000000516C: D1ED008B 00D759AD
	v_perm_b32 v139, v174, v139, s54                           // 000000005174: D1ED008B 00DB17AE
	v_perm_b32 v139, v175, v139, s55                           // 00000000517C: D1ED008B 00DF17AF
	v_rcp_f32_e32 v24, v22                                     // 000000005184: 7E304516
	v_rcp_f32_e32 v25, v23                                     // 000000005188: 7E324517
	v_lshrrev_b32_e32 v48, 5, v0                               // 00000000518C: 20600085
	v_lshlrev_b32_e32 v49, 5, v48                              // 000000005190: 24626085
	v_and_b32_e32 v48, 31, v0                                  // 000000005194: 2660009F
	v_lshrrev_b32_e32 v50, 4, v48                              // 000000005198: 20646084
	v_add_u32_e32 v49, v50, v49                                // 00000000519C: 68626332
	v_and_b32_e32 v48, 15, v0                                  // 0000000051A0: 2660008F
	v_lshlrev_b32_e32 v48, 1, v48                              // 0000000051A4: 24606081
	v_add_u32_e32 v49, v48, v49                                // 0000000051A8: 68626330
	v_lshlrev_b32_e32 v48, 2, v49                              // 0000000051AC: 24606282
	s_mul_i32 s60, 0x100, s7                                   // 0000000051B0: 923C07FF 00000100
	v_add_u32_e64 v48, v48, s60                                // 0000000051B8: D1340030 00007930
	ds_write_b32 v48, v128 offset:18688                        // 0000000051C0: D81A4900 00008030
	ds_write_b32 v48, v129 offset:24832                        // 0000000051C8: D81A6100 00008130
	ds_write_b32 v48, v130 offset:19712                        // 0000000051D0: D81A4D00 00008230
	ds_write_b32 v48, v131 offset:25856                        // 0000000051D8: D81A6500 00008330
	ds_write_b32 v48, v132 offset:20736                        // 0000000051E0: D81A5100 00008430
	ds_write_b32 v48, v133 offset:26880                        // 0000000051E8: D81A6900 00008530
	ds_write_b32 v48, v134 offset:21760                        // 0000000051F0: D81A5500 00008630
	ds_write_b32 v48, v135 offset:27904                        // 0000000051F8: D81A6D00 00008730
	ds_write_b32 v48, v136 offset:22784                        // 000000005200: D81A5900 00008830
	ds_write_b32 v48, v137 offset:28928                        // 000000005208: D81A7100 00008930
	ds_write_b32 v48, v138 offset:23808                        // 000000005210: D81A5D00 00008A30
	ds_write_b32 v48, v139 offset:29952                        // 000000005218: D81A7500 00008B30
	s_waitcnt lgkmcnt(0)                                       // 000000005220: BF8CC07F
	s_barrier                                                  // 000000005224: BF8A0000
	v_lshrrev_b32_e32 v48, 4, v0                               // 000000005228: 20600084
	v_lshlrev_b32_e32 v49, 6, v48                              // 00000000522C: 24626086
	v_and_b32_e32 v48, 15, v0                                  // 000000005230: 2660008F
	v_lshlrev_b32_e32 v48, 1, v48                              // 000000005234: 24606081
	v_add_u32_e32 v49, v48, v49                                // 000000005238: 68626330
	v_lshlrev_b32_e32 v48, 2, v49                              // 00000000523C: 24606282
	ds_read_b64 v[128:129], v48 offset:18688                   // 000000005240: D8EC4900 80000030
	ds_read_b64 v[130:131], v48 offset:18816                   // 000000005248: D8EC4980 82000030
	ds_read_b64 v[132:133], v48 offset:19712                   // 000000005250: D8EC4D00 84000030
	ds_read_b64 v[134:135], v48 offset:19840                   // 000000005258: D8EC4D80 86000030
	ds_read_b64 v[136:137], v48 offset:20736                   // 000000005260: D8EC5100 88000030
	ds_read_b64 v[138:139], v48 offset:20864                   // 000000005268: D8EC5180 8A000030
	ds_read_b64 v[140:141], v48 offset:21760                   // 000000005270: D8EC5500 8C000030
	ds_read_b64 v[142:143], v48 offset:21888                   // 000000005278: D8EC5580 8E000030
	ds_read_b64 v[144:145], v48 offset:22784                   // 000000005280: D8EC5900 90000030
	ds_read_b64 v[146:147], v48 offset:22912                   // 000000005288: D8EC5980 92000030
	ds_read_b64 v[148:149], v48 offset:23808                   // 000000005290: D8EC5D00 94000030
	ds_read_b64 v[150:151], v48 offset:23936                   // 000000005298: D8EC5D80 96000030
	ds_read_b64 v[152:153], v48 offset:24832                   // 0000000052A0: D8EC6100 98000030
	ds_read_b64 v[154:155], v48 offset:24960                   // 0000000052A8: D8EC6180 9A000030
	ds_read_b64 v[156:157], v48 offset:25856                   // 0000000052B0: D8EC6500 9C000030
	ds_read_b64 v[158:159], v48 offset:25984                   // 0000000052B8: D8EC6580 9E000030
	ds_read_b64 v[160:161], v48 offset:26880                   // 0000000052C0: D8EC6900 A0000030
	ds_read_b64 v[162:163], v48 offset:27008                   // 0000000052C8: D8EC6980 A2000030
	ds_read_b64 v[164:165], v48 offset:27904                   // 0000000052D0: D8EC6D00 A4000030
	ds_read_b64 v[166:167], v48 offset:28032                   // 0000000052D8: D8EC6D80 A6000030
	ds_read_b64 v[168:169], v48 offset:28928                   // 0000000052E0: D8EC7100 A8000030
	ds_read_b64 v[170:171], v48 offset:29056                   // 0000000052E8: D8EC7180 AA000030
	ds_read_b64 v[172:173], v48 offset:29952                   // 0000000052F0: D8EC7500 AC000030
	ds_read_b64 v[174:175], v48 offset:30080                   // 0000000052F8: D8EC7580 AE000030
	s_add_u32 s12, s56, s12                                    // 000000005300: 800C0C38
	s_addc_u32 s13, 0, s13                                     // 000000005304: 820D0D80
	s_add_u32 s16, s79, s16                                    // 000000005308: 8010104F
	s_addc_u32 s17, 0, s17                                     // 00000000530C: 82111180
	s_mov_b32 s80, 0                                           // 000000005310: BED00080
	s_waitcnt vmcnt(0) expcnt(0) lgkmcnt(0)                    // 000000005314: BF8C0000

0000000000005318 <label_0A06>:
	s_waitcnt vmcnt(37)                                        // 000000005318: BF8C8F75
	s_barrier                                                  // 00000000531C: BF8A0000
	v_mfma_i32_16x16x32_i8 v[176:179], a[0:1], v[128:129], 0   // 000000005320: D3D700B0 0A030100
	v_mfma_i32_16x16x32_i8 v[176:179], a[2:3], v[130:131], v[176:179]// 000000005328: D3D700B0 0EC30502
	buffer_load_dwordx4 a[96:99], v40, s[12:15], 0 offen       // 000000005330: E05C1000 80836028
	v_mfma_i32_16x16x32_i8 v[180:183], a[0:1], v[152:153], 0   // 000000005338: D3D700B4 0A033100
	v_mfma_i32_16x16x32_i8 v[180:183], a[2:3], v[154:155], v[180:183]// 000000005340: D3D700B4 0ED33502
	v_mfma_i32_16x16x32_i8 v[184:187], a[4:5], v[128:129], 0   // 000000005348: D3D700B8 0A030104
	v_mfma_i32_16x16x32_i8 v[184:187], a[6:7], v[130:131], v[184:187]// 000000005350: D3D700B8 0EE30506
	buffer_load_dwordx4 a[100:103], v41, s[12:15], 0 offen     // 000000005358: E05C1000 80836429
	v_mfma_i32_16x16x32_i8 v[188:191], a[4:5], v[152:153], 0   // 000000005360: D3D700BC 0A033104
	v_mfma_i32_16x16x32_i8 v[188:191], a[6:7], v[154:155], v[188:191]// 000000005368: D3D700BC 0EF33506
	v_mfma_i32_16x16x32_i8 v[192:195], a[8:9], v[128:129], 0   // 000000005370: D3D700C0 0A030108
	v_mfma_i32_16x16x32_i8 v[192:195], a[10:11], v[130:131], v[192:195]// 000000005378: D3D700C0 0F03050A
	buffer_load_dwordx4 a[104:107], v42, s[12:15], 0 offen     // 000000005380: E05C1000 8083682A
	v_mfma_i32_16x16x32_i8 v[196:199], a[8:9], v[152:153], 0   // 000000005388: D3D700C4 0A033108
	v_mfma_i32_16x16x32_i8 v[196:199], a[10:11], v[154:155], v[196:199]// 000000005390: D3D700C4 0F13350A
	v_mfma_i32_16x16x32_i8 v[200:203], a[12:13], v[128:129], 0 // 000000005398: D3D700C8 0A03010C
	v_mfma_i32_16x16x32_i8 v[200:203], a[14:15], v[130:131], v[200:203]// 0000000053A0: D3D700C8 0F23050E
	buffer_load_dwordx4 a[108:111], v43, s[12:15], 0 offen     // 0000000053A8: E05C1000 80836C2B
	s_add_u32 s12, s78, s12                                    // 0000000053B0: 800C0C4E
	s_addc_u32 s13, 0, s13                                     // 0000000053B4: 820D0D80
	v_mfma_i32_16x16x32_i8 v[204:207], a[12:13], v[152:153], 0 // 0000000053B8: D3D700CC 0A03310C
	v_mfma_i32_16x16x32_i8 v[204:207], a[14:15], v[154:155], v[204:207]// 0000000053C0: D3D700CC 0F33350E
	s_waitcnt vmcnt(37)                                        // 0000000053C8: BF8C8F75
	v_mfma_i32_16x16x32_i8 v[176:179], a[16:17], v[132:133], v[176:179]// 0000000053CC: D3D700B0 0EC30910
	v_mfma_i32_16x16x32_i8 v[176:179], a[18:19], v[134:135], v[176:179]// 0000000053D4: D3D700B0 0EC30D12
	buffer_load_dwordx4 a[112:115], v40, s[12:15], 0 offen     // 0000000053DC: E05C1000 80837028
	v_mfma_i32_16x16x32_i8 v[180:183], a[16:17], v[156:157], v[180:183]// 0000000053E4: D3D700B4 0ED33910
	v_mfma_i32_16x16x32_i8 v[180:183], a[18:19], v[158:159], v[180:183]// 0000000053EC: D3D700B4 0ED33D12
	v_mfma_i32_16x16x32_i8 v[184:187], a[20:21], v[132:133], v[184:187]// 0000000053F4: D3D700B8 0EE30914
	v_mfma_i32_16x16x32_i8 v[184:187], a[22:23], v[134:135], v[184:187]// 0000000053FC: D3D700B8 0EE30D16
	buffer_load_dwordx4 a[116:119], v41, s[12:15], 0 offen     // 000000005404: E05C1000 80837429
	v_mfma_i32_16x16x32_i8 v[188:191], a[20:21], v[156:157], v[188:191]// 00000000540C: D3D700BC 0EF33914
	v_mfma_i32_16x16x32_i8 v[188:191], a[22:23], v[158:159], v[188:191]// 000000005414: D3D700BC 0EF33D16
	v_mfma_i32_16x16x32_i8 v[192:195], a[24:25], v[132:133], v[192:195]// 00000000541C: D3D700C0 0F030918
	v_mfma_i32_16x16x32_i8 v[192:195], a[26:27], v[134:135], v[192:195]// 000000005424: D3D700C0 0F030D1A
	buffer_load_dwordx4 a[120:123], v42, s[12:15], 0 offen     // 00000000542C: E05C1000 8083782A
	v_mfma_i32_16x16x32_i8 v[196:199], a[24:25], v[156:157], v[196:199]// 000000005434: D3D700C4 0F133918
	v_mfma_i32_16x16x32_i8 v[196:199], a[26:27], v[158:159], v[196:199]// 00000000543C: D3D700C4 0F133D1A
	v_mfma_i32_16x16x32_i8 v[200:203], a[28:29], v[132:133], v[200:203]// 000000005444: D3D700C8 0F23091C
	v_mfma_i32_16x16x32_i8 v[200:203], a[30:31], v[134:135], v[200:203]// 00000000544C: D3D700C8 0F230D1E
	buffer_load_dwordx4 a[124:127], v43, s[12:15], 0 offen     // 000000005454: E05C1000 80837C2B
	s_add_u32 s12, s78, s12                                    // 00000000545C: 800C0C4E
	s_addc_u32 s13, 0, s13                                     // 000000005460: 820D0D80
	v_mfma_i32_16x16x32_i8 v[204:207], a[28:29], v[156:157], v[204:207]// 000000005464: D3D700CC 0F33391C
	v_mfma_i32_16x16x32_i8 v[204:207], a[30:31], v[158:159], v[204:207]// 00000000546C: D3D700CC 0F333D1E
	s_waitcnt vmcnt(37)                                        // 000000005474: BF8C8F75
	v_mfma_i32_16x16x32_i8 v[176:179], a[32:33], v[136:137], v[176:179]// 000000005478: D3D700B0 0EC31120
	v_mfma_i32_16x16x32_i8 v[176:179], a[34:35], v[138:139], v[176:179]// 000000005480: D3D700B0 0EC31522
	buffer_load_dwordx4 a[128:131], v40, s[12:15], 0 offen     // 000000005488: E05C1000 80838028
	v_mfma_i32_16x16x32_i8 v[180:183], a[32:33], v[160:161], v[180:183]// 000000005490: D3D700B4 0ED34120
	v_mfma_i32_16x16x32_i8 v[180:183], a[34:35], v[162:163], v[180:183]// 000000005498: D3D700B4 0ED34522
	v_mfma_i32_16x16x32_i8 v[184:187], a[36:37], v[136:137], v[184:187]// 0000000054A0: D3D700B8 0EE31124
	v_mfma_i32_16x16x32_i8 v[184:187], a[38:39], v[138:139], v[184:187]// 0000000054A8: D3D700B8 0EE31526
	buffer_load_dwordx4 a[132:135], v41, s[12:15], 0 offen     // 0000000054B0: E05C1000 80838429
	v_mfma_i32_16x16x32_i8 v[188:191], a[36:37], v[160:161], v[188:191]// 0000000054B8: D3D700BC 0EF34124
	v_mfma_i32_16x16x32_i8 v[188:191], a[38:39], v[162:163], v[188:191]// 0000000054C0: D3D700BC 0EF34526
	v_mfma_i32_16x16x32_i8 v[192:195], a[40:41], v[136:137], v[192:195]// 0000000054C8: D3D700C0 0F031128
	v_mfma_i32_16x16x32_i8 v[192:195], a[42:43], v[138:139], v[192:195]// 0000000054D0: D3D700C0 0F03152A
	buffer_load_dwordx4 a[136:139], v42, s[12:15], 0 offen     // 0000000054D8: E05C1000 8083882A
	v_mfma_i32_16x16x32_i8 v[196:199], a[40:41], v[160:161], v[196:199]// 0000000054E0: D3D700C4 0F134128
	v_mfma_i32_16x16x32_i8 v[196:199], a[42:43], v[162:163], v[196:199]// 0000000054E8: D3D700C4 0F13452A
	v_mfma_i32_16x16x32_i8 v[200:203], a[44:45], v[136:137], v[200:203]// 0000000054F0: D3D700C8 0F23112C
	v_mfma_i32_16x16x32_i8 v[200:203], a[46:47], v[138:139], v[200:203]// 0000000054F8: D3D700C8 0F23152E
	buffer_load_dwordx4 a[140:143], v43, s[12:15], 0 offen     // 000000005500: E05C1000 80838C2B
	s_add_u32 s12, s78, s12                                    // 000000005508: 800C0C4E
	s_addc_u32 s13, 0, s13                                     // 00000000550C: 820D0D80
	v_mfma_i32_16x16x32_i8 v[204:207], a[44:45], v[160:161], v[204:207]// 000000005510: D3D700CC 0F33412C
	v_mfma_i32_16x16x32_i8 v[204:207], a[46:47], v[162:163], v[204:207]// 000000005518: D3D700CC 0F33452E
	s_waitcnt vmcnt(37)                                        // 000000005520: BF8C8F75
	v_mfma_i32_16x16x32_i8 v[176:179], a[48:49], v[140:141], v[176:179]// 000000005524: D3D700B0 0EC31930
	v_mfma_i32_16x16x32_i8 v[176:179], a[50:51], v[142:143], v[176:179]// 00000000552C: D3D700B0 0EC31D32
	buffer_load_dwordx4 a[144:147], v40, s[12:15], 0 offen     // 000000005534: E05C1000 80839028
	v_mfma_i32_16x16x32_i8 v[180:183], a[48:49], v[164:165], v[180:183]// 00000000553C: D3D700B4 0ED34930
	v_mfma_i32_16x16x32_i8 v[180:183], a[50:51], v[166:167], v[180:183]// 000000005544: D3D700B4 0ED34D32
	v_mfma_i32_16x16x32_i8 v[184:187], a[52:53], v[140:141], v[184:187]// 00000000554C: D3D700B8 0EE31934
	v_mfma_i32_16x16x32_i8 v[184:187], a[54:55], v[142:143], v[184:187]// 000000005554: D3D700B8 0EE31D36
	buffer_load_dwordx4 a[148:151], v41, s[12:15], 0 offen     // 00000000555C: E05C1000 80839429
	v_mfma_i32_16x16x32_i8 v[188:191], a[52:53], v[164:165], v[188:191]// 000000005564: D3D700BC 0EF34934
	v_mfma_i32_16x16x32_i8 v[188:191], a[54:55], v[166:167], v[188:191]// 00000000556C: D3D700BC 0EF34D36
	v_mfma_i32_16x16x32_i8 v[192:195], a[56:57], v[140:141], v[192:195]// 000000005574: D3D700C0 0F031938
	v_mfma_i32_16x16x32_i8 v[192:195], a[58:59], v[142:143], v[192:195]// 00000000557C: D3D700C0 0F031D3A
	buffer_load_dwordx4 a[152:155], v42, s[12:15], 0 offen     // 000000005584: E05C1000 8083982A
	v_mfma_i32_16x16x32_i8 v[196:199], a[56:57], v[164:165], v[196:199]// 00000000558C: D3D700C4 0F134938
	v_mfma_i32_16x16x32_i8 v[196:199], a[58:59], v[166:167], v[196:199]// 000000005594: D3D700C4 0F134D3A
	v_mfma_i32_16x16x32_i8 v[200:203], a[60:61], v[140:141], v[200:203]// 00000000559C: D3D700C8 0F23193C
	v_mfma_i32_16x16x32_i8 v[200:203], a[62:63], v[142:143], v[200:203]// 0000000055A4: D3D700C8 0F231D3E
	buffer_load_dwordx4 a[156:159], v43, s[12:15], 0 offen     // 0000000055AC: E05C1000 80839C2B
	s_add_u32 s12, s78, s12                                    // 0000000055B4: 800C0C4E
	s_addc_u32 s13, 0, s13                                     // 0000000055B8: 820D0D80
	v_mfma_i32_16x16x32_i8 v[204:207], a[60:61], v[164:165], v[204:207]// 0000000055BC: D3D700CC 0F33493C
	v_mfma_i32_16x16x32_i8 v[204:207], a[62:63], v[166:167], v[204:207]// 0000000055C4: D3D700CC 0F334D3E
	s_waitcnt vmcnt(37)                                        // 0000000055CC: BF8C8F75
	v_mfma_i32_16x16x32_i8 v[176:179], a[64:65], v[144:145], v[176:179]// 0000000055D0: D3D700B0 0EC32140
	v_mfma_i32_16x16x32_i8 v[176:179], a[66:67], v[146:147], v[176:179]// 0000000055D8: D3D700B0 0EC32542
	buffer_load_dwordx4 a[160:163], v40, s[12:15], 0 offen     // 0000000055E0: E05C1000 8083A028
	v_mfma_i32_16x16x32_i8 v[180:183], a[64:65], v[168:169], v[180:183]// 0000000055E8: D3D700B4 0ED35140
	v_mfma_i32_16x16x32_i8 v[180:183], a[66:67], v[170:171], v[180:183]// 0000000055F0: D3D700B4 0ED35542
	v_mfma_i32_16x16x32_i8 v[184:187], a[68:69], v[144:145], v[184:187]// 0000000055F8: D3D700B8 0EE32144
	v_mfma_i32_16x16x32_i8 v[184:187], a[70:71], v[146:147], v[184:187]// 000000005600: D3D700B8 0EE32546
	buffer_load_dwordx4 a[164:167], v41, s[12:15], 0 offen     // 000000005608: E05C1000 8083A429
	v_mfma_i32_16x16x32_i8 v[188:191], a[68:69], v[168:169], v[188:191]// 000000005610: D3D700BC 0EF35144
	v_mfma_i32_16x16x32_i8 v[188:191], a[70:71], v[170:171], v[188:191]// 000000005618: D3D700BC 0EF35546
	v_mfma_i32_16x16x32_i8 v[192:195], a[72:73], v[144:145], v[192:195]// 000000005620: D3D700C0 0F032148
	v_mfma_i32_16x16x32_i8 v[192:195], a[74:75], v[146:147], v[192:195]// 000000005628: D3D700C0 0F03254A
	buffer_load_dwordx4 a[168:171], v42, s[12:15], 0 offen     // 000000005630: E05C1000 8083A82A
	v_mfma_i32_16x16x32_i8 v[196:199], a[72:73], v[168:169], v[196:199]// 000000005638: D3D700C4 0F135148
	v_mfma_i32_16x16x32_i8 v[196:199], a[74:75], v[170:171], v[196:199]// 000000005640: D3D700C4 0F13554A
	v_mfma_i32_16x16x32_i8 v[200:203], a[76:77], v[144:145], v[200:203]// 000000005648: D3D700C8 0F23214C
	v_mfma_i32_16x16x32_i8 v[200:203], a[78:79], v[146:147], v[200:203]// 000000005650: D3D700C8 0F23254E
	buffer_load_dwordx4 a[172:175], v43, s[12:15], 0 offen     // 000000005658: E05C1000 8083AC2B
	s_add_u32 s12, s78, s12                                    // 000000005660: 800C0C4E
	s_addc_u32 s13, 0, s13                                     // 000000005664: 820D0D80
	v_mfma_i32_16x16x32_i8 v[204:207], a[76:77], v[168:169], v[204:207]// 000000005668: D3D700CC 0F33514C
	v_mfma_i32_16x16x32_i8 v[204:207], a[78:79], v[170:171], v[204:207]// 000000005670: D3D700CC 0F33554E
	s_waitcnt vmcnt(36)                                        // 000000005678: BF8C8F74
	v_mfma_i32_16x16x32_i8 v[176:179], a[80:81], v[148:149], v[176:179]// 00000000567C: D3D700B0 0EC32950
	v_mfma_i32_16x16x32_i8 v[176:179], a[82:83], v[150:151], v[176:179]// 000000005684: D3D700B0 0EC32D52
	buffer_load_dwordx4 a[176:179], v40, s[12:15], 0 offen     // 00000000568C: E05C1000 8083B028
	v_mfma_i32_16x16x32_i8 v[180:183], a[80:81], v[172:173], v[180:183]// 000000005694: D3D700B4 0ED35950
	v_mfma_i32_16x16x32_i8 v[180:183], a[82:83], v[174:175], v[180:183]// 00000000569C: D3D700B4 0ED35D52
	buffer_load_dword v13, v5, s[16:19], 0 offen               // 0000000056A4: E0501000 80040D05
	v_mfma_i32_16x16x32_i8 v[184:187], a[84:85], v[148:149], v[184:187]// 0000000056AC: D3D700B8 0EE32954
	v_mfma_i32_16x16x32_i8 v[184:187], a[86:87], v[150:151], v[184:187]// 0000000056B4: D3D700B8 0EE32D56
	buffer_load_dwordx4 a[180:183], v41, s[12:15], 0 offen     // 0000000056BC: E05C1000 8083B429
	v_mfma_i32_16x16x32_i8 v[188:191], a[84:85], v[172:173], v[188:191]// 0000000056C4: D3D700BC 0EF35954
	v_mfma_i32_16x16x32_i8 v[188:191], a[86:87], v[174:175], v[188:191]// 0000000056CC: D3D700BC 0EF35D56
	v_mfma_i32_16x16x32_i8 v[192:195], a[88:89], v[148:149], v[192:195]// 0000000056D4: D3D700C0 0F032958
	v_mfma_i32_16x16x32_i8 v[192:195], a[90:91], v[150:151], v[192:195]// 0000000056DC: D3D700C0 0F032D5A
	buffer_load_dwordx4 a[184:187], v42, s[12:15], 0 offen     // 0000000056E4: E05C1000 8083B82A
	v_mfma_i32_16x16x32_i8 v[196:199], a[88:89], v[172:173], v[196:199]// 0000000056EC: D3D700C4 0F135958
	v_mfma_i32_16x16x32_i8 v[196:199], a[90:91], v[174:175], v[196:199]// 0000000056F4: D3D700C4 0F135D5A
	v_mfma_i32_16x16x32_i8 v[200:203], a[92:93], v[148:149], v[200:203]// 0000000056FC: D3D700C8 0F23295C
	v_mfma_i32_16x16x32_i8 v[200:203], a[94:95], v[150:151], v[200:203]// 000000005704: D3D700C8 0F232D5E
	buffer_load_dwordx4 a[188:191], v43, s[12:15], 0 offen     // 00000000570C: E05C1000 8083BC2B
	v_mfma_i32_16x16x32_i8 v[204:207], a[92:93], v[172:173], v[204:207]// 000000005714: D3D700CC 0F33595C
	v_mfma_i32_16x16x32_i8 v[204:207], a[94:95], v[174:175], v[204:207]// 00000000571C: D3D700CC 0F335D5E
	s_add_u32 s60, 0x200, s80                                  // 000000005724: 803C50FF 00000200
	s_cmp_lt_u32 s60, s81                                      // 00000000572C: BF0A513C
	s_cselect_b32 s56, s56, 0                                  // 000000005730: 85388038
	s_cselect_b32 s78, s78, 0                                  // 000000005734: 854E804E
	s_cselect_b32 s79, s79, 0                                  // 000000005738: 854F804F
	s_add_u32 s12, s56, s12                                    // 00000000573C: 800C0C38
	s_addc_u32 s13, 0, s13                                     // 000000005740: 820D0D80
	s_add_u32 s16, s79, s16                                    // 000000005744: 8010104F
	s_addc_u32 s17, 0, s17                                     // 000000005748: 82111180
	v_cvt_f32_i32_e32 v176, v176                               // 00000000574C: 7F600BB0
	v_cvt_f32_i32_e32 v177, v177                               // 000000005750: 7F620BB1
	v_cvt_f32_i32_e32 v178, v178                               // 000000005754: 7F640BB2
	v_cvt_f32_i32_e32 v179, v179                               // 000000005758: 7F660BB3
	v_mul_f32_e32 v176, v24, v176                              // 00000000575C: 0B616118
	v_mul_f32_e32 v177, v24, v177                              // 000000005760: 0B636318
	v_mul_f32_e32 v178, v24, v178                              // 000000005764: 0B656518
	v_mul_f32_e32 v179, v24, v179                              // 000000005768: 0B676718
	v_mul_f32_dpp v176, v12, v176 row_newbcast:0 row_mask:0xf bank_mask:0xf// 00000000576C: 0B6160FA FF01500C
	v_mul_f32_dpp v177, v12, v177 row_newbcast:1 row_mask:0xf bank_mask:0xf// 000000005774: 0B6362FA FF01510C
	v_mul_f32_dpp v178, v12, v178 row_newbcast:2 row_mask:0xf bank_mask:0xf// 00000000577C: 0B6564FA FF01520C
	v_mul_f32_dpp v179, v12, v179 row_newbcast:3 row_mask:0xf bank_mask:0xf// 000000005784: 0B6766FA FF01530C
	v_mul_f32_e32 v176, v20, v176                              // 00000000578C: 0B616114
	v_mul_f32_e32 v177, v20, v177                              // 000000005790: 0B636314
	v_mul_f32_e32 v178, v20, v178                              // 000000005794: 0B656514
	v_mul_f32_e32 v179, v20, v179                              // 000000005798: 0B676714
	v_cvt_f32_i32_e32 v180, v180                               // 00000000579C: 7F680BB4
	v_cvt_f32_i32_e32 v181, v181                               // 0000000057A0: 7F6A0BB5
	v_cvt_f32_i32_e32 v182, v182                               // 0000000057A4: 7F6C0BB6
	v_cvt_f32_i32_e32 v183, v183                               // 0000000057A8: 7F6E0BB7
	v_mul_f32_e32 v180, v25, v180                              // 0000000057AC: 0B696919
	v_mul_f32_e32 v181, v25, v181                              // 0000000057B0: 0B6B6B19
	v_mul_f32_e32 v182, v25, v182                              // 0000000057B4: 0B6D6D19
	v_mul_f32_e32 v183, v25, v183                              // 0000000057B8: 0B6F6F19
	v_mul_f32_dpp v180, v12, v180 row_newbcast:0 row_mask:0xf bank_mask:0xf// 0000000057BC: 0B6968FA FF01500C
	v_mul_f32_dpp v181, v12, v181 row_newbcast:1 row_mask:0xf bank_mask:0xf// 0000000057C4: 0B6B6AFA FF01510C
	v_mul_f32_dpp v182, v12, v182 row_newbcast:2 row_mask:0xf bank_mask:0xf// 0000000057CC: 0B6D6CFA FF01520C
	v_mul_f32_dpp v183, v12, v183 row_newbcast:3 row_mask:0xf bank_mask:0xf// 0000000057D4: 0B6F6EFA FF01530C
	v_mul_f32_e32 v180, v21, v180                              // 0000000057DC: 0B696915
	v_mul_f32_e32 v181, v21, v181                              // 0000000057E0: 0B6B6B15
	v_mul_f32_e32 v182, v21, v182                              // 0000000057E4: 0B6D6D15
	v_mul_f32_e32 v183, v21, v183                              // 0000000057E8: 0B6F6F15
	v_cvt_f32_i32_e32 v184, v184                               // 0000000057EC: 7F700BB8
	v_cvt_f32_i32_e32 v185, v185                               // 0000000057F0: 7F720BB9
	v_cvt_f32_i32_e32 v186, v186                               // 0000000057F4: 7F740BBA
	v_cvt_f32_i32_e32 v187, v187                               // 0000000057F8: 7F760BBB
	v_mul_f32_e32 v184, v24, v184                              // 0000000057FC: 0B717118
	v_mul_f32_e32 v185, v24, v185                              // 000000005800: 0B737318
	v_mul_f32_e32 v186, v24, v186                              // 000000005804: 0B757518
	v_mul_f32_e32 v187, v24, v187                              // 000000005808: 0B777718
	v_mul_f32_dpp v184, v12, v184 row_newbcast:4 row_mask:0xf bank_mask:0xf// 00000000580C: 0B7170FA FF01540C
	v_mul_f32_dpp v185, v12, v185 row_newbcast:5 row_mask:0xf bank_mask:0xf// 000000005814: 0B7372FA FF01550C
	v_mul_f32_dpp v186, v12, v186 row_newbcast:6 row_mask:0xf bank_mask:0xf// 00000000581C: 0B7574FA FF01560C
	v_mul_f32_dpp v187, v12, v187 row_newbcast:7 row_mask:0xf bank_mask:0xf// 000000005824: 0B7776FA FF01570C
	v_mul_f32_e32 v184, v20, v184                              // 00000000582C: 0B717114
	v_mul_f32_e32 v185, v20, v185                              // 000000005830: 0B737314
	v_mul_f32_e32 v186, v20, v186                              // 000000005834: 0B757514
	v_mul_f32_e32 v187, v20, v187                              // 000000005838: 0B777714
	v_cvt_f32_i32_e32 v188, v188                               // 00000000583C: 7F780BBC
	v_cvt_f32_i32_e32 v189, v189                               // 000000005840: 7F7A0BBD
	v_cvt_f32_i32_e32 v190, v190                               // 000000005844: 7F7C0BBE
	v_cvt_f32_i32_e32 v191, v191                               // 000000005848: 7F7E0BBF
	v_mul_f32_e32 v188, v25, v188                              // 00000000584C: 0B797919
	v_mul_f32_e32 v189, v25, v189                              // 000000005850: 0B7B7B19
	v_mul_f32_e32 v190, v25, v190                              // 000000005854: 0B7D7D19
	v_mul_f32_e32 v191, v25, v191                              // 000000005858: 0B7F7F19
	v_mul_f32_dpp v188, v12, v188 row_newbcast:4 row_mask:0xf bank_mask:0xf// 00000000585C: 0B7978FA FF01540C
	v_mul_f32_dpp v189, v12, v189 row_newbcast:5 row_mask:0xf bank_mask:0xf// 000000005864: 0B7B7AFA FF01550C
	v_mul_f32_dpp v190, v12, v190 row_newbcast:6 row_mask:0xf bank_mask:0xf// 00000000586C: 0B7D7CFA FF01560C
	v_mul_f32_dpp v191, v12, v191 row_newbcast:7 row_mask:0xf bank_mask:0xf// 000000005874: 0B7F7EFA FF01570C
	v_mul_f32_e32 v188, v21, v188                              // 00000000587C: 0B797915
	v_mul_f32_e32 v189, v21, v189                              // 000000005880: 0B7B7B15
	v_mul_f32_e32 v190, v21, v190                              // 000000005884: 0B7D7D15
	v_mul_f32_e32 v191, v21, v191                              // 000000005888: 0B7F7F15
	v_cvt_f32_i32_e32 v192, v192                               // 00000000588C: 7F800BC0
	v_cvt_f32_i32_e32 v193, v193                               // 000000005890: 7F820BC1
	v_cvt_f32_i32_e32 v194, v194                               // 000000005894: 7F840BC2
	v_cvt_f32_i32_e32 v195, v195                               // 000000005898: 7F860BC3
	v_mul_f32_e32 v192, v24, v192                              // 00000000589C: 0B818118
	v_mul_f32_e32 v193, v24, v193                              // 0000000058A0: 0B838318
	v_mul_f32_e32 v194, v24, v194                              // 0000000058A4: 0B858518
	v_mul_f32_e32 v195, v24, v195                              // 0000000058A8: 0B878718
	v_mul_f32_dpp v192, v12, v192 row_newbcast:8 row_mask:0xf bank_mask:0xf// 0000000058AC: 0B8180FA FF01580C
	v_mul_f32_dpp v193, v12, v193 row_newbcast:9 row_mask:0xf bank_mask:0xf// 0000000058B4: 0B8382FA FF01590C
	v_mul_f32_dpp v194, v12, v194 row_newbcast:10 row_mask:0xf bank_mask:0xf// 0000000058BC: 0B8584FA FF015A0C
	v_mul_f32_dpp v195, v12, v195 row_newbcast:11 row_mask:0xf bank_mask:0xf// 0000000058C4: 0B8786FA FF015B0C
	v_mul_f32_e32 v192, v20, v192                              // 0000000058CC: 0B818114
	v_mul_f32_e32 v193, v20, v193                              // 0000000058D0: 0B838314
	v_mul_f32_e32 v194, v20, v194                              // 0000000058D4: 0B858514
	v_mul_f32_e32 v195, v20, v195                              // 0000000058D8: 0B878714
	v_cvt_f32_i32_e32 v196, v196                               // 0000000058DC: 7F880BC4
	v_cvt_f32_i32_e32 v197, v197                               // 0000000058E0: 7F8A0BC5
	v_cvt_f32_i32_e32 v198, v198                               // 0000000058E4: 7F8C0BC6
	v_cvt_f32_i32_e32 v199, v199                               // 0000000058E8: 7F8E0BC7
	v_mul_f32_e32 v196, v25, v196                              // 0000000058EC: 0B898919
	v_mul_f32_e32 v197, v25, v197                              // 0000000058F0: 0B8B8B19
	v_mul_f32_e32 v198, v25, v198                              // 0000000058F4: 0B8D8D19
	v_mul_f32_e32 v199, v25, v199                              // 0000000058F8: 0B8F8F19
	v_mul_f32_dpp v196, v12, v196 row_newbcast:8 row_mask:0xf bank_mask:0xf// 0000000058FC: 0B8988FA FF01580C
	v_mul_f32_dpp v197, v12, v197 row_newbcast:9 row_mask:0xf bank_mask:0xf// 000000005904: 0B8B8AFA FF01590C
	v_mul_f32_dpp v198, v12, v198 row_newbcast:10 row_mask:0xf bank_mask:0xf// 00000000590C: 0B8D8CFA FF015A0C
	v_mul_f32_dpp v199, v12, v199 row_newbcast:11 row_mask:0xf bank_mask:0xf// 000000005914: 0B8F8EFA FF015B0C
	v_mul_f32_e32 v196, v21, v196                              // 00000000591C: 0B898915
	v_mul_f32_e32 v197, v21, v197                              // 000000005920: 0B8B8B15
	v_mul_f32_e32 v198, v21, v198                              // 000000005924: 0B8D8D15
	v_mul_f32_e32 v199, v21, v199                              // 000000005928: 0B8F8F15
	v_cvt_f32_i32_e32 v200, v200                               // 00000000592C: 7F900BC8
	v_cvt_f32_i32_e32 v201, v201                               // 000000005930: 7F920BC9
	v_cvt_f32_i32_e32 v202, v202                               // 000000005934: 7F940BCA
	v_cvt_f32_i32_e32 v203, v203                               // 000000005938: 7F960BCB
	v_mul_f32_e32 v200, v24, v200                              // 00000000593C: 0B919118
	v_mul_f32_e32 v201, v24, v201                              // 000000005940: 0B939318
	v_mul_f32_e32 v202, v24, v202                              // 000000005944: 0B959518
	v_mul_f32_e32 v203, v24, v203                              // 000000005948: 0B979718
	v_mul_f32_dpp v200, v12, v200 row_newbcast:12 row_mask:0xf bank_mask:0xf// 00000000594C: 0B9190FA FF015C0C
	v_mul_f32_dpp v201, v12, v201 row_newbcast:13 row_mask:0xf bank_mask:0xf// 000000005954: 0B9392FA FF015D0C
	v_mul_f32_dpp v202, v12, v202 row_newbcast:14 row_mask:0xf bank_mask:0xf// 00000000595C: 0B9594FA FF015E0C
	v_mul_f32_dpp v203, v12, v203 row_newbcast:15 row_mask:0xf bank_mask:0xf// 000000005964: 0B9796FA FF015F0C
	v_mul_f32_e32 v200, v20, v200                              // 00000000596C: 0B919114
	v_mul_f32_e32 v201, v20, v201                              // 000000005970: 0B939314
	v_mul_f32_e32 v202, v20, v202                              // 000000005974: 0B959514
	v_mul_f32_e32 v203, v20, v203                              // 000000005978: 0B979714
	v_cvt_f32_i32_e32 v204, v204                               // 00000000597C: 7F980BCC
	v_cvt_f32_i32_e32 v205, v205                               // 000000005980: 7F9A0BCD
	v_cvt_f32_i32_e32 v206, v206                               // 000000005984: 7F9C0BCE
	v_cvt_f32_i32_e32 v207, v207                               // 000000005988: 7F9E0BCF
	v_mul_f32_e32 v204, v25, v204                              // 00000000598C: 0B999919
	v_mul_f32_e32 v205, v25, v205                              // 000000005990: 0B9B9B19
	v_mul_f32_e32 v206, v25, v206                              // 000000005994: 0B9D9D19
	v_mul_f32_e32 v207, v25, v207                              // 000000005998: 0B9F9F19
	v_mul_f32_dpp v204, v12, v204 row_newbcast:12 row_mask:0xf bank_mask:0xf// 00000000599C: 0B9998FA FF015C0C
	v_mul_f32_dpp v205, v12, v205 row_newbcast:13 row_mask:0xf bank_mask:0xf// 0000000059A4: 0B9B9AFA FF015D0C
	v_mul_f32_dpp v206, v12, v206 row_newbcast:14 row_mask:0xf bank_mask:0xf// 0000000059AC: 0B9D9CFA FF015E0C
	v_mul_f32_dpp v207, v12, v207 row_newbcast:15 row_mask:0xf bank_mask:0xf// 0000000059B4: 0B9F9EFA FF015F0C
	v_mul_f32_e32 v204, v21, v204                              // 0000000059BC: 0B999915
	v_mul_f32_e32 v205, v21, v205                              // 0000000059C0: 0B9B9B15
	v_mul_f32_e32 v206, v21, v206                              // 0000000059C4: 0B9D9D15
	v_mul_f32_e32 v207, v21, v207                              // 0000000059C8: 0B9F9F15
	v_cmp_u_f32_e64 s[48:49], v176, v176                       // 0000000059CC: D0480030 000361B0
	v_add3_u32 v44, v176, v47, 1                               // 0000000059D4: D1FF002C 02065FB0
	v_cndmask_b32_e64 v48, v44, v46, s[48:49]                  // 0000000059DC: D1000030 00C25D2C
	v_cmp_u_f32_e64 s[48:49], v177, v177                       // 0000000059E4: D0480030 000363B1
	v_add3_u32 v44, v177, v47, 1                               // 0000000059EC: D1FF002C 02065FB1
	v_cndmask_b32_e64 v49, v44, v46, s[48:49]                  // 0000000059F4: D1000031 00C25D2C
	v_perm_b32 v176, v49, v48, s52                             // 0000000059FC: D1ED00B0 00D26131
	v_cmp_u_f32_e64 s[48:49], v178, v178                       // 000000005A04: D0480030 000365B2
	v_add3_u32 v44, v178, v47, 1                               // 000000005A0C: D1FF002C 02065FB2
	v_cndmask_b32_e64 v48, v44, v46, s[48:49]                  // 000000005A14: D1000030 00C25D2C
	v_cmp_u_f32_e64 s[48:49], v179, v179                       // 000000005A1C: D0480030 000367B3
	v_add3_u32 v44, v179, v47, 1                               // 000000005A24: D1FF002C 02065FB3
	v_cndmask_b32_e64 v49, v44, v46, s[48:49]                  // 000000005A2C: D1000031 00C25D2C
	v_perm_b32 v177, v49, v48, s52                             // 000000005A34: D1ED00B1 00D26131
	v_cmp_u_f32_e64 s[48:49], v180, v180                       // 000000005A3C: D0480030 000369B4
	v_add3_u32 v44, v180, v47, 1                               // 000000005A44: D1FF002C 02065FB4
	v_cndmask_b32_e64 v48, v44, v46, s[48:49]                  // 000000005A4C: D1000030 00C25D2C
	v_cmp_u_f32_e64 s[48:49], v181, v181                       // 000000005A54: D0480030 00036BB5
	v_add3_u32 v44, v181, v47, 1                               // 000000005A5C: D1FF002C 02065FB5
	v_cndmask_b32_e64 v49, v44, v46, s[48:49]                  // 000000005A64: D1000031 00C25D2C
	v_perm_b32 v178, v49, v48, s52                             // 000000005A6C: D1ED00B2 00D26131
	v_cmp_u_f32_e64 s[48:49], v182, v182                       // 000000005A74: D0480030 00036DB6
	v_add3_u32 v44, v182, v47, 1                               // 000000005A7C: D1FF002C 02065FB6
	v_cndmask_b32_e64 v48, v44, v46, s[48:49]                  // 000000005A84: D1000030 00C25D2C
	v_cmp_u_f32_e64 s[48:49], v183, v183                       // 000000005A8C: D0480030 00036FB7
	v_add3_u32 v44, v183, v47, 1                               // 000000005A94: D1FF002C 02065FB7
	v_cndmask_b32_e64 v49, v44, v46, s[48:49]                  // 000000005A9C: D1000031 00C25D2C
	v_perm_b32 v179, v49, v48, s52                             // 000000005AA4: D1ED00B3 00D26131
	v_cmp_u_f32_e64 s[48:49], v184, v184                       // 000000005AAC: D0480030 000371B8
	v_add3_u32 v44, v184, v47, 1                               // 000000005AB4: D1FF002C 02065FB8
	v_cndmask_b32_e64 v48, v44, v46, s[48:49]                  // 000000005ABC: D1000030 00C25D2C
	v_cmp_u_f32_e64 s[48:49], v185, v185                       // 000000005AC4: D0480030 000373B9
	v_add3_u32 v44, v185, v47, 1                               // 000000005ACC: D1FF002C 02065FB9
	v_cndmask_b32_e64 v49, v44, v46, s[48:49]                  // 000000005AD4: D1000031 00C25D2C
	v_perm_b32 v180, v49, v48, s52                             // 000000005ADC: D1ED00B4 00D26131
	v_cmp_u_f32_e64 s[48:49], v186, v186                       // 000000005AE4: D0480030 000375BA
	v_add3_u32 v44, v186, v47, 1                               // 000000005AEC: D1FF002C 02065FBA
	v_cndmask_b32_e64 v48, v44, v46, s[48:49]                  // 000000005AF4: D1000030 00C25D2C
	v_cmp_u_f32_e64 s[48:49], v187, v187                       // 000000005AFC: D0480030 000377BB
	v_add3_u32 v44, v187, v47, 1                               // 000000005B04: D1FF002C 02065FBB
	v_cndmask_b32_e64 v49, v44, v46, s[48:49]                  // 000000005B0C: D1000031 00C25D2C
	v_perm_b32 v181, v49, v48, s52                             // 000000005B14: D1ED00B5 00D26131
	v_cmp_u_f32_e64 s[48:49], v188, v188                       // 000000005B1C: D0480030 000379BC
	v_add3_u32 v44, v188, v47, 1                               // 000000005B24: D1FF002C 02065FBC
	v_cndmask_b32_e64 v48, v44, v46, s[48:49]                  // 000000005B2C: D1000030 00C25D2C
	v_cmp_u_f32_e64 s[48:49], v189, v189                       // 000000005B34: D0480030 00037BBD
	v_add3_u32 v44, v189, v47, 1                               // 000000005B3C: D1FF002C 02065FBD
	v_cndmask_b32_e64 v49, v44, v46, s[48:49]                  // 000000005B44: D1000031 00C25D2C
	v_perm_b32 v182, v49, v48, s52                             // 000000005B4C: D1ED00B6 00D26131
	v_cmp_u_f32_e64 s[48:49], v190, v190                       // 000000005B54: D0480030 00037DBE
	v_add3_u32 v44, v190, v47, 1                               // 000000005B5C: D1FF002C 02065FBE
	v_cndmask_b32_e64 v48, v44, v46, s[48:49]                  // 000000005B64: D1000030 00C25D2C
	v_cmp_u_f32_e64 s[48:49], v191, v191                       // 000000005B6C: D0480030 00037FBF
	v_add3_u32 v44, v191, v47, 1                               // 000000005B74: D1FF002C 02065FBF
	v_cndmask_b32_e64 v49, v44, v46, s[48:49]                  // 000000005B7C: D1000031 00C25D2C
	v_perm_b32 v183, v49, v48, s52                             // 000000005B84: D1ED00B7 00D26131
	v_cmp_u_f32_e64 s[48:49], v192, v192                       // 000000005B8C: D0480030 000381C0
	v_add3_u32 v44, v192, v47, 1                               // 000000005B94: D1FF002C 02065FC0
	v_cndmask_b32_e64 v48, v44, v46, s[48:49]                  // 000000005B9C: D1000030 00C25D2C
	v_cmp_u_f32_e64 s[48:49], v193, v193                       // 000000005BA4: D0480030 000383C1
	v_add3_u32 v44, v193, v47, 1                               // 000000005BAC: D1FF002C 02065FC1
	v_cndmask_b32_e64 v49, v44, v46, s[48:49]                  // 000000005BB4: D1000031 00C25D2C
	v_perm_b32 v184, v49, v48, s52                             // 000000005BBC: D1ED00B8 00D26131
	v_cmp_u_f32_e64 s[48:49], v194, v194                       // 000000005BC4: D0480030 000385C2
	v_add3_u32 v44, v194, v47, 1                               // 000000005BCC: D1FF002C 02065FC2
	v_cndmask_b32_e64 v48, v44, v46, s[48:49]                  // 000000005BD4: D1000030 00C25D2C
	v_cmp_u_f32_e64 s[48:49], v195, v195                       // 000000005BDC: D0480030 000387C3
	v_add3_u32 v44, v195, v47, 1                               // 000000005BE4: D1FF002C 02065FC3
	v_cndmask_b32_e64 v49, v44, v46, s[48:49]                  // 000000005BEC: D1000031 00C25D2C
	v_perm_b32 v185, v49, v48, s52                             // 000000005BF4: D1ED00B9 00D26131
	v_cmp_u_f32_e64 s[48:49], v196, v196                       // 000000005BFC: D0480030 000389C4
	v_add3_u32 v44, v196, v47, 1                               // 000000005C04: D1FF002C 02065FC4
	v_cndmask_b32_e64 v48, v44, v46, s[48:49]                  // 000000005C0C: D1000030 00C25D2C
	v_cmp_u_f32_e64 s[48:49], v197, v197                       // 000000005C14: D0480030 00038BC5
	v_add3_u32 v44, v197, v47, 1                               // 000000005C1C: D1FF002C 02065FC5
	v_cndmask_b32_e64 v49, v44, v46, s[48:49]                  // 000000005C24: D1000031 00C25D2C
	v_perm_b32 v186, v49, v48, s52                             // 000000005C2C: D1ED00BA 00D26131
	v_cmp_u_f32_e64 s[48:49], v198, v198                       // 000000005C34: D0480030 00038DC6
	v_add3_u32 v44, v198, v47, 1                               // 000000005C3C: D1FF002C 02065FC6
	v_cndmask_b32_e64 v48, v44, v46, s[48:49]                  // 000000005C44: D1000030 00C25D2C
	v_cmp_u_f32_e64 s[48:49], v199, v199                       // 000000005C4C: D0480030 00038FC7
	v_add3_u32 v44, v199, v47, 1                               // 000000005C54: D1FF002C 02065FC7
	v_cndmask_b32_e64 v49, v44, v46, s[48:49]                  // 000000005C5C: D1000031 00C25D2C
	v_perm_b32 v187, v49, v48, s52                             // 000000005C64: D1ED00BB 00D26131
	v_cmp_u_f32_e64 s[48:49], v200, v200                       // 000000005C6C: D0480030 000391C8
	v_add3_u32 v44, v200, v47, 1                               // 000000005C74: D1FF002C 02065FC8
	v_cndmask_b32_e64 v48, v44, v46, s[48:49]                  // 000000005C7C: D1000030 00C25D2C
	v_cmp_u_f32_e64 s[48:49], v201, v201                       // 000000005C84: D0480030 000393C9
	v_add3_u32 v44, v201, v47, 1                               // 000000005C8C: D1FF002C 02065FC9
	v_cndmask_b32_e64 v49, v44, v46, s[48:49]                  // 000000005C94: D1000031 00C25D2C
	v_perm_b32 v188, v49, v48, s52                             // 000000005C9C: D1ED00BC 00D26131
	v_cmp_u_f32_e64 s[48:49], v202, v202                       // 000000005CA4: D0480030 000395CA
	v_add3_u32 v44, v202, v47, 1                               // 000000005CAC: D1FF002C 02065FCA
	v_cndmask_b32_e64 v48, v44, v46, s[48:49]                  // 000000005CB4: D1000030 00C25D2C
	v_cmp_u_f32_e64 s[48:49], v203, v203                       // 000000005CBC: D0480030 000397CB
	v_add3_u32 v44, v203, v47, 1                               // 000000005CC4: D1FF002C 02065FCB
	v_cndmask_b32_e64 v49, v44, v46, s[48:49]                  // 000000005CCC: D1000031 00C25D2C
	v_perm_b32 v189, v49, v48, s52                             // 000000005CD4: D1ED00BD 00D26131
	v_cmp_u_f32_e64 s[48:49], v204, v204                       // 000000005CDC: D0480030 000399CC
	v_add3_u32 v44, v204, v47, 1                               // 000000005CE4: D1FF002C 02065FCC
	v_cndmask_b32_e64 v48, v44, v46, s[48:49]                  // 000000005CEC: D1000030 00C25D2C
	v_cmp_u_f32_e64 s[48:49], v205, v205                       // 000000005CF4: D0480030 00039BCD
	v_add3_u32 v44, v205, v47, 1                               // 000000005CFC: D1FF002C 02065FCD
	v_cndmask_b32_e64 v49, v44, v46, s[48:49]                  // 000000005D04: D1000031 00C25D2C
	v_perm_b32 v190, v49, v48, s52                             // 000000005D0C: D1ED00BE 00D26131
	v_cmp_u_f32_e64 s[48:49], v206, v206                       // 000000005D14: D0480030 00039DCE
	v_add3_u32 v44, v206, v47, 1                               // 000000005D1C: D1FF002C 02065FCE
	v_cndmask_b32_e64 v48, v44, v46, s[48:49]                  // 000000005D24: D1000030 00C25D2C
	v_cmp_u_f32_e64 s[48:49], v207, v207                       // 000000005D2C: D0480030 00039FCF
	v_add3_u32 v44, v207, v47, 1                               // 000000005D34: D1FF002C 02065FCF
	v_cndmask_b32_e64 v49, v44, v46, s[48:49]                  // 000000005D3C: D1000031 00C25D2C
	v_perm_b32 v191, v49, v48, s52                             // 000000005D44: D1ED00BF 00D26131
	ds_write_b64 v3, v[176:177] offset:30976                   // 000000005D4C: D89A7900 0000B003
	ds_write_b64 v3, v[178:179] offset:39680                   // 000000005D54: D89A9B00 0000B203
	ds_write_b64 v3, v[180:181] offset:33152                   // 000000005D5C: D89A8180 0000B403
	ds_write_b64 v3, v[182:183] offset:41856                   // 000000005D64: D89AA380 0000B603
	ds_write_b64 v3, v[184:185] offset:35328                   // 000000005D6C: D89A8A00 0000B803
	ds_write_b64 v3, v[186:187] offset:44032                   // 000000005D74: D89AAC00 0000BA03
	ds_write_b64 v3, v[188:189] offset:37504                   // 000000005D7C: D89A9280 0000BC03
	ds_write_b64 v3, v[190:191] offset:46208                   // 000000005D84: D89AB480 0000BE03
	s_waitcnt lgkmcnt(0)                                       // 000000005D8C: BF8CC07F
	s_barrier                                                  // 000000005D90: BF8A0000
	ds_read_b32 v64, v4 offset:30976                           // 000000005D94: D86C7900 40000004
	ds_read_b32 v65, v4 offset:35328                           // 000000005D9C: D86C8A00 41000004
	ds_read_b32 v66, v4 offset:31008                           // 000000005DA4: D86C7920 42000004
	ds_read_b32 v67, v4 offset:35360                           // 000000005DAC: D86C8A20 43000004
	ds_read_b32 v68, v4 offset:31040                           // 000000005DB4: D86C7940 44000004
	ds_read_b32 v69, v4 offset:35392                           // 000000005DBC: D86C8A40 45000004
	ds_read_b32 v70, v4 offset:31072                           // 000000005DC4: D86C7960 46000004
	ds_read_b32 v71, v4 offset:35424                           // 000000005DCC: D86C8A60 47000004
	ds_read_b32 v72, v4 offset:39680                           // 000000005DD4: D86C9B00 48000004
	ds_read_b32 v73, v4 offset:44032                           // 000000005DDC: D86CAC00 49000004
	ds_read_b32 v74, v4 offset:39712                           // 000000005DE4: D86C9B20 4A000004
	ds_read_b32 v75, v4 offset:44064                           // 000000005DEC: D86CAC20 4B000004
	ds_read_b32 v76, v4 offset:39744                           // 000000005DF4: D86C9B40 4C000004
	ds_read_b32 v77, v4 offset:44096                           // 000000005DFC: D86CAC40 4D000004
	ds_read_b32 v78, v4 offset:39776                           // 000000005E04: D86C9B60 4E000004
	ds_read_b32 v79, v4 offset:44128                           // 000000005E0C: D86CAC60 4F000004
	s_waitcnt lgkmcnt(0)                                       // 000000005E14: BF8CC07F
	s_mov_b64 exec, s[20:21]                                   // 000000005E18: BEFE0114
	global_atomic_pk_add_bf16 v80, v64, s[8:9]                 // 000000005E1C: DD488000 00084050
	s_mov_b64 exec, s[36:37]                                   // 000000005E24: BEFE0124
	s_mov_b64 exec, s[20:21]                                   // 000000005E28: BEFE0114
	global_atomic_pk_add_bf16 v80, v65, s[8:9] offset:256      // 000000005E2C: DD488100 00084150
	s_mov_b64 exec, s[36:37]                                   // 000000005E34: BEFE0124
	s_mov_b64 exec, s[22:23]                                   // 000000005E38: BEFE0116
	global_atomic_pk_add_bf16 v82, v66, s[8:9]                 // 000000005E3C: DD488000 00084252
	s_mov_b64 exec, s[36:37]                                   // 000000005E44: BEFE0124
	s_mov_b64 exec, s[22:23]                                   // 000000005E48: BEFE0116
	global_atomic_pk_add_bf16 v82, v67, s[8:9] offset:256      // 000000005E4C: DD488100 00084352
	s_mov_b64 exec, s[36:37]                                   // 000000005E54: BEFE0124
	s_mov_b64 exec, s[24:25]                                   // 000000005E58: BEFE0118
	global_atomic_pk_add_bf16 v84, v68, s[8:9]                 // 000000005E5C: DD488000 00084454
	s_mov_b64 exec, s[36:37]                                   // 000000005E64: BEFE0124
	s_mov_b64 exec, s[24:25]                                   // 000000005E68: BEFE0118
	global_atomic_pk_add_bf16 v84, v69, s[8:9] offset:256      // 000000005E6C: DD488100 00084554
	s_mov_b64 exec, s[36:37]                                   // 000000005E74: BEFE0124
	s_mov_b64 exec, s[26:27]                                   // 000000005E78: BEFE011A
	global_atomic_pk_add_bf16 v86, v70, s[8:9]                 // 000000005E7C: DD488000 00084656
	s_mov_b64 exec, s[36:37]                                   // 000000005E84: BEFE0124
	s_mov_b64 exec, s[26:27]                                   // 000000005E88: BEFE011A
	global_atomic_pk_add_bf16 v86, v71, s[8:9] offset:256      // 000000005E8C: DD488100 00084756
	s_mov_b64 exec, s[36:37]                                   // 000000005E94: BEFE0124
	s_mov_b64 exec, s[28:29]                                   // 000000005E98: BEFE011C
	global_atomic_pk_add_bf16 v88, v72, s[8:9]                 // 000000005E9C: DD488000 00084858
	s_mov_b64 exec, s[36:37]                                   // 000000005EA4: BEFE0124
	s_mov_b64 exec, s[28:29]                                   // 000000005EA8: BEFE011C
	global_atomic_pk_add_bf16 v88, v73, s[8:9] offset:256      // 000000005EAC: DD488100 00084958
	s_mov_b64 exec, s[36:37]                                   // 000000005EB4: BEFE0124
	s_mov_b64 exec, s[30:31]                                   // 000000005EB8: BEFE011E
	global_atomic_pk_add_bf16 v90, v74, s[8:9]                 // 000000005EBC: DD488000 00084A5A
	s_mov_b64 exec, s[36:37]                                   // 000000005EC4: BEFE0124
	s_mov_b64 exec, s[30:31]                                   // 000000005EC8: BEFE011E
	global_atomic_pk_add_bf16 v90, v75, s[8:9] offset:256      // 000000005ECC: DD488100 00084B5A
	s_mov_b64 exec, s[36:37]                                   // 000000005ED4: BEFE0124
	s_mov_b64 exec, s[32:33]                                   // 000000005ED8: BEFE0120
	global_atomic_pk_add_bf16 v92, v76, s[8:9]                 // 000000005EDC: DD488000 00084C5C
	s_mov_b64 exec, s[36:37]                                   // 000000005EE4: BEFE0124
	s_mov_b64 exec, s[32:33]                                   // 000000005EE8: BEFE0120
	global_atomic_pk_add_bf16 v92, v77, s[8:9] offset:256      // 000000005EEC: DD488100 00084D5C
	s_mov_b64 exec, s[36:37]                                   // 000000005EF4: BEFE0124
	s_mov_b64 exec, s[34:35]                                   // 000000005EF8: BEFE0122
	global_atomic_pk_add_bf16 v94, v78, s[8:9]                 // 000000005EFC: DD488000 00084E5E
	s_mov_b64 exec, s[36:37]                                   // 000000005F04: BEFE0124
	s_mov_b64 exec, s[34:35]                                   // 000000005F08: BEFE0122
	global_atomic_pk_add_bf16 v94, v79, s[8:9] offset:256      // 000000005F0C: DD488100 00084F5E
	s_mov_b64 exec, s[36:37]                                   // 000000005F14: BEFE0124
	s_add_u32 s8, s59, s8                                      // 000000005F18: 8008083B
	s_addc_u32 s9, 0, s9                                       // 000000005F1C: 82090980
	s_addk_i32 s80, 0x100                                      // 000000005F20: B7500100
	s_cmp_lt_i32 s80, s81                                      // 000000005F24: BF045150
	s_cbranch_scc0 label_1011                                  // 000000005F28: BF840306
	s_waitcnt vmcnt(37)                                        // 000000005F2C: BF8C8F75
	s_barrier                                                  // 000000005F30: BF8A0000
	v_mfma_i32_16x16x32_i8 v[208:211], a[96:97], v[128:129], 0 // 000000005F34: D3D700D0 0A030160
	v_mfma_i32_16x16x32_i8 v[208:211], a[98:99], v[130:131], v[208:211]// 000000005F3C: D3D700D0 0F430562
	buffer_load_dwordx4 a[0:3], v40, s[12:15], 0 offen         // 000000005F44: E05C1000 80830028
	v_mfma_i32_16x16x32_i8 v[212:215], a[96:97], v[152:153], 0 // 000000005F4C: D3D700D4 0A033160
	v_mfma_i32_16x16x32_i8 v[212:215], a[98:99], v[154:155], v[212:215]// 000000005F54: D3D700D4 0F533562
	v_mfma_i32_16x16x32_i8 v[216:219], a[100:101], v[128:129], 0// 000000005F5C: D3D700D8 0A030164
	v_mfma_i32_16x16x32_i8 v[216:219], a[102:103], v[130:131], v[216:219]// 000000005F64: D3D700D8 0F630566
	buffer_load_dwordx4 a[4:7], v41, s[12:15], 0 offen         // 000000005F6C: E05C1000 80830429
	v_mfma_i32_16x16x32_i8 v[220:223], a[100:101], v[152:153], 0// 000000005F74: D3D700DC 0A033164
	v_mfma_i32_16x16x32_i8 v[220:223], a[102:103], v[154:155], v[220:223]// 000000005F7C: D3D700DC 0F733566
	v_mfma_i32_16x16x32_i8 v[224:227], a[104:105], v[128:129], 0// 000000005F84: D3D700E0 0A030168
	v_mfma_i32_16x16x32_i8 v[224:227], a[106:107], v[130:131], v[224:227]// 000000005F8C: D3D700E0 0F83056A
	buffer_load_dwordx4 a[8:11], v42, s[12:15], 0 offen        // 000000005F94: E05C1000 8083082A
	v_mfma_i32_16x16x32_i8 v[228:231], a[104:105], v[152:153], 0// 000000005F9C: D3D700E4 0A033168
	v_mfma_i32_16x16x32_i8 v[228:231], a[106:107], v[154:155], v[228:231]// 000000005FA4: D3D700E4 0F93356A
	v_mfma_i32_16x16x32_i8 v[232:235], a[108:109], v[128:129], 0// 000000005FAC: D3D700E8 0A03016C
	v_mfma_i32_16x16x32_i8 v[232:235], a[110:111], v[130:131], v[232:235]// 000000005FB4: D3D700E8 0FA3056E
	buffer_load_dwordx4 a[12:15], v43, s[12:15], 0 offen       // 000000005FBC: E05C1000 80830C2B
	s_add_u32 s12, s78, s12                                    // 000000005FC4: 800C0C4E
	s_addc_u32 s13, 0, s13                                     // 000000005FC8: 820D0D80
	v_mfma_i32_16x16x32_i8 v[236:239], a[108:109], v[152:153], 0// 000000005FCC: D3D700EC 0A03316C
	v_mfma_i32_16x16x32_i8 v[236:239], a[110:111], v[154:155], v[236:239]// 000000005FD4: D3D700EC 0FB3356E
	s_waitcnt vmcnt(37)                                        // 000000005FDC: BF8C8F75
	v_mfma_i32_16x16x32_i8 v[208:211], a[112:113], v[132:133], v[208:211]// 000000005FE0: D3D700D0 0F430970
	v_mfma_i32_16x16x32_i8 v[208:211], a[114:115], v[134:135], v[208:211]// 000000005FE8: D3D700D0 0F430D72
	buffer_load_dwordx4 a[16:19], v40, s[12:15], 0 offen       // 000000005FF0: E05C1000 80831028
	v_mfma_i32_16x16x32_i8 v[212:215], a[112:113], v[156:157], v[212:215]// 000000005FF8: D3D700D4 0F533970
	v_mfma_i32_16x16x32_i8 v[212:215], a[114:115], v[158:159], v[212:215]// 000000006000: D3D700D4 0F533D72
	v_mfma_i32_16x16x32_i8 v[216:219], a[116:117], v[132:133], v[216:219]// 000000006008: D3D700D8 0F630974
	v_mfma_i32_16x16x32_i8 v[216:219], a[118:119], v[134:135], v[216:219]// 000000006010: D3D700D8 0F630D76
	buffer_load_dwordx4 a[20:23], v41, s[12:15], 0 offen       // 000000006018: E05C1000 80831429
	v_mfma_i32_16x16x32_i8 v[220:223], a[116:117], v[156:157], v[220:223]// 000000006020: D3D700DC 0F733974
	v_mfma_i32_16x16x32_i8 v[220:223], a[118:119], v[158:159], v[220:223]// 000000006028: D3D700DC 0F733D76
	v_mfma_i32_16x16x32_i8 v[224:227], a[120:121], v[132:133], v[224:227]// 000000006030: D3D700E0 0F830978
	v_mfma_i32_16x16x32_i8 v[224:227], a[122:123], v[134:135], v[224:227]// 000000006038: D3D700E0 0F830D7A
	buffer_load_dwordx4 a[24:27], v42, s[12:15], 0 offen       // 000000006040: E05C1000 8083182A
	v_mfma_i32_16x16x32_i8 v[228:231], a[120:121], v[156:157], v[228:231]// 000000006048: D3D700E4 0F933978
	v_mfma_i32_16x16x32_i8 v[228:231], a[122:123], v[158:159], v[228:231]// 000000006050: D3D700E4 0F933D7A
	v_mfma_i32_16x16x32_i8 v[232:235], a[124:125], v[132:133], v[232:235]// 000000006058: D3D700E8 0FA3097C
	v_mfma_i32_16x16x32_i8 v[232:235], a[126:127], v[134:135], v[232:235]// 000000006060: D3D700E8 0FA30D7E
	buffer_load_dwordx4 a[28:31], v43, s[12:15], 0 offen       // 000000006068: E05C1000 80831C2B
	s_add_u32 s12, s78, s12                                    // 000000006070: 800C0C4E
	s_addc_u32 s13, 0, s13                                     // 000000006074: 820D0D80
	v_mfma_i32_16x16x32_i8 v[236:239], a[124:125], v[156:157], v[236:239]// 000000006078: D3D700EC 0FB3397C
	v_mfma_i32_16x16x32_i8 v[236:239], a[126:127], v[158:159], v[236:239]// 000000006080: D3D700EC 0FB33D7E
	s_waitcnt vmcnt(37)                                        // 000000006088: BF8C8F75
	v_mfma_i32_16x16x32_i8 v[208:211], a[128:129], v[136:137], v[208:211]// 00000000608C: D3D700D0 0F431180
	v_mfma_i32_16x16x32_i8 v[208:211], a[130:131], v[138:139], v[208:211]// 000000006094: D3D700D0 0F431582
	buffer_load_dwordx4 a[32:35], v40, s[12:15], 0 offen       // 00000000609C: E05C1000 80832028
	v_mfma_i32_16x16x32_i8 v[212:215], a[128:129], v[160:161], v[212:215]// 0000000060A4: D3D700D4 0F534180
	v_mfma_i32_16x16x32_i8 v[212:215], a[130:131], v[162:163], v[212:215]// 0000000060AC: D3D700D4 0F534582
	v_mfma_i32_16x16x32_i8 v[216:219], a[132:133], v[136:137], v[216:219]// 0000000060B4: D3D700D8 0F631184
	v_mfma_i32_16x16x32_i8 v[216:219], a[134:135], v[138:139], v[216:219]// 0000000060BC: D3D700D8 0F631586
	buffer_load_dwordx4 a[36:39], v41, s[12:15], 0 offen       // 0000000060C4: E05C1000 80832429
	v_mfma_i32_16x16x32_i8 v[220:223], a[132:133], v[160:161], v[220:223]// 0000000060CC: D3D700DC 0F734184
	v_mfma_i32_16x16x32_i8 v[220:223], a[134:135], v[162:163], v[220:223]// 0000000060D4: D3D700DC 0F734586
	v_mfma_i32_16x16x32_i8 v[224:227], a[136:137], v[136:137], v[224:227]// 0000000060DC: D3D700E0 0F831188
	v_mfma_i32_16x16x32_i8 v[224:227], a[138:139], v[138:139], v[224:227]// 0000000060E4: D3D700E0 0F83158A
	buffer_load_dwordx4 a[40:43], v42, s[12:15], 0 offen       // 0000000060EC: E05C1000 8083282A
	v_mfma_i32_16x16x32_i8 v[228:231], a[136:137], v[160:161], v[228:231]// 0000000060F4: D3D700E4 0F934188
	v_mfma_i32_16x16x32_i8 v[228:231], a[138:139], v[162:163], v[228:231]// 0000000060FC: D3D700E4 0F93458A
	v_mfma_i32_16x16x32_i8 v[232:235], a[140:141], v[136:137], v[232:235]// 000000006104: D3D700E8 0FA3118C
	v_mfma_i32_16x16x32_i8 v[232:235], a[142:143], v[138:139], v[232:235]// 00000000610C: D3D700E8 0FA3158E
	buffer_load_dwordx4 a[44:47], v43, s[12:15], 0 offen       // 000000006114: E05C1000 80832C2B
	s_add_u32 s12, s78, s12                                    // 00000000611C: 800C0C4E
	s_addc_u32 s13, 0, s13                                     // 000000006120: 820D0D80
	v_mfma_i32_16x16x32_i8 v[236:239], a[140:141], v[160:161], v[236:239]// 000000006124: D3D700EC 0FB3418C
	v_mfma_i32_16x16x32_i8 v[236:239], a[142:143], v[162:163], v[236:239]// 00000000612C: D3D700EC 0FB3458E
	s_waitcnt vmcnt(37)                                        // 000000006134: BF8C8F75
	v_mfma_i32_16x16x32_i8 v[208:211], a[144:145], v[140:141], v[208:211]// 000000006138: D3D700D0 0F431990
	v_mfma_i32_16x16x32_i8 v[208:211], a[146:147], v[142:143], v[208:211]// 000000006140: D3D700D0 0F431D92
	buffer_load_dwordx4 a[48:51], v40, s[12:15], 0 offen       // 000000006148: E05C1000 80833028
	v_mfma_i32_16x16x32_i8 v[212:215], a[144:145], v[164:165], v[212:215]// 000000006150: D3D700D4 0F534990
	v_mfma_i32_16x16x32_i8 v[212:215], a[146:147], v[166:167], v[212:215]// 000000006158: D3D700D4 0F534D92
	v_mfma_i32_16x16x32_i8 v[216:219], a[148:149], v[140:141], v[216:219]// 000000006160: D3D700D8 0F631994
	v_mfma_i32_16x16x32_i8 v[216:219], a[150:151], v[142:143], v[216:219]// 000000006168: D3D700D8 0F631D96
	buffer_load_dwordx4 a[52:55], v41, s[12:15], 0 offen       // 000000006170: E05C1000 80833429
	v_mfma_i32_16x16x32_i8 v[220:223], a[148:149], v[164:165], v[220:223]// 000000006178: D3D700DC 0F734994
	v_mfma_i32_16x16x32_i8 v[220:223], a[150:151], v[166:167], v[220:223]// 000000006180: D3D700DC 0F734D96
	v_mfma_i32_16x16x32_i8 v[224:227], a[152:153], v[140:141], v[224:227]// 000000006188: D3D700E0 0F831998
	v_mfma_i32_16x16x32_i8 v[224:227], a[154:155], v[142:143], v[224:227]// 000000006190: D3D700E0 0F831D9A
	buffer_load_dwordx4 a[56:59], v42, s[12:15], 0 offen       // 000000006198: E05C1000 8083382A
	v_mfma_i32_16x16x32_i8 v[228:231], a[152:153], v[164:165], v[228:231]// 0000000061A0: D3D700E4 0F934998
	v_mfma_i32_16x16x32_i8 v[228:231], a[154:155], v[166:167], v[228:231]// 0000000061A8: D3D700E4 0F934D9A
	v_mfma_i32_16x16x32_i8 v[232:235], a[156:157], v[140:141], v[232:235]// 0000000061B0: D3D700E8 0FA3199C
	v_mfma_i32_16x16x32_i8 v[232:235], a[158:159], v[142:143], v[232:235]// 0000000061B8: D3D700E8 0FA31D9E
	buffer_load_dwordx4 a[60:63], v43, s[12:15], 0 offen       // 0000000061C0: E05C1000 80833C2B
	s_add_u32 s12, s78, s12                                    // 0000000061C8: 800C0C4E
	s_addc_u32 s13, 0, s13                                     // 0000000061CC: 820D0D80
	v_mfma_i32_16x16x32_i8 v[236:239], a[156:157], v[164:165], v[236:239]// 0000000061D0: D3D700EC 0FB3499C
	v_mfma_i32_16x16x32_i8 v[236:239], a[158:159], v[166:167], v[236:239]// 0000000061D8: D3D700EC 0FB34D9E
	s_waitcnt vmcnt(37)                                        // 0000000061E0: BF8C8F75
	v_mfma_i32_16x16x32_i8 v[208:211], a[160:161], v[144:145], v[208:211]// 0000000061E4: D3D700D0 0F4321A0
	v_mfma_i32_16x16x32_i8 v[208:211], a[162:163], v[146:147], v[208:211]// 0000000061EC: D3D700D0 0F4325A2
	buffer_load_dwordx4 a[64:67], v40, s[12:15], 0 offen       // 0000000061F4: E05C1000 80834028
	v_mfma_i32_16x16x32_i8 v[212:215], a[160:161], v[168:169], v[212:215]// 0000000061FC: D3D700D4 0F5351A0
	v_mfma_i32_16x16x32_i8 v[212:215], a[162:163], v[170:171], v[212:215]// 000000006204: D3D700D4 0F5355A2
	v_mfma_i32_16x16x32_i8 v[216:219], a[164:165], v[144:145], v[216:219]// 00000000620C: D3D700D8 0F6321A4
	v_mfma_i32_16x16x32_i8 v[216:219], a[166:167], v[146:147], v[216:219]// 000000006214: D3D700D8 0F6325A6
	buffer_load_dwordx4 a[68:71], v41, s[12:15], 0 offen       // 00000000621C: E05C1000 80834429
	v_mfma_i32_16x16x32_i8 v[220:223], a[164:165], v[168:169], v[220:223]// 000000006224: D3D700DC 0F7351A4
	v_mfma_i32_16x16x32_i8 v[220:223], a[166:167], v[170:171], v[220:223]// 00000000622C: D3D700DC 0F7355A6
	v_mfma_i32_16x16x32_i8 v[224:227], a[168:169], v[144:145], v[224:227]// 000000006234: D3D700E0 0F8321A8
	v_mfma_i32_16x16x32_i8 v[224:227], a[170:171], v[146:147], v[224:227]// 00000000623C: D3D700E0 0F8325AA
	buffer_load_dwordx4 a[72:75], v42, s[12:15], 0 offen       // 000000006244: E05C1000 8083482A
	v_mfma_i32_16x16x32_i8 v[228:231], a[168:169], v[168:169], v[228:231]// 00000000624C: D3D700E4 0F9351A8
	v_mfma_i32_16x16x32_i8 v[228:231], a[170:171], v[170:171], v[228:231]// 000000006254: D3D700E4 0F9355AA
	v_mfma_i32_16x16x32_i8 v[232:235], a[172:173], v[144:145], v[232:235]// 00000000625C: D3D700E8 0FA321AC
	v_mfma_i32_16x16x32_i8 v[232:235], a[174:175], v[146:147], v[232:235]// 000000006264: D3D700E8 0FA325AE
	buffer_load_dwordx4 a[76:79], v43, s[12:15], 0 offen       // 00000000626C: E05C1000 80834C2B
	s_add_u32 s12, s78, s12                                    // 000000006274: 800C0C4E
	s_addc_u32 s13, 0, s13                                     // 000000006278: 820D0D80
	v_mfma_i32_16x16x32_i8 v[236:239], a[172:173], v[168:169], v[236:239]// 00000000627C: D3D700EC 0FB351AC
	v_mfma_i32_16x16x32_i8 v[236:239], a[174:175], v[170:171], v[236:239]// 000000006284: D3D700EC 0FB355AE
	s_waitcnt vmcnt(36)                                        // 00000000628C: BF8C8F74
	v_mfma_i32_16x16x32_i8 v[208:211], a[176:177], v[148:149], v[208:211]// 000000006290: D3D700D0 0F4329B0
	v_mfma_i32_16x16x32_i8 v[208:211], a[178:179], v[150:151], v[208:211]// 000000006298: D3D700D0 0F432DB2
	buffer_load_dwordx4 a[80:83], v40, s[12:15], 0 offen       // 0000000062A0: E05C1000 80835028
	v_mfma_i32_16x16x32_i8 v[212:215], a[176:177], v[172:173], v[212:215]// 0000000062A8: D3D700D4 0F5359B0
	v_mfma_i32_16x16x32_i8 v[212:215], a[178:179], v[174:175], v[212:215]// 0000000062B0: D3D700D4 0F535DB2
	buffer_load_dword v12, v5, s[16:19], 0 offen               // 0000000062B8: E0501000 80040C05
	v_mfma_i32_16x16x32_i8 v[216:219], a[180:181], v[148:149], v[216:219]// 0000000062C0: D3D700D8 0F6329B4
	v_mfma_i32_16x16x32_i8 v[216:219], a[182:183], v[150:151], v[216:219]// 0000000062C8: D3D700D8 0F632DB6
	buffer_load_dwordx4 a[84:87], v41, s[12:15], 0 offen       // 0000000062D0: E05C1000 80835429
	v_mfma_i32_16x16x32_i8 v[220:223], a[180:181], v[172:173], v[220:223]// 0000000062D8: D3D700DC 0F7359B4
	v_mfma_i32_16x16x32_i8 v[220:223], a[182:183], v[174:175], v[220:223]// 0000000062E0: D3D700DC 0F735DB6
	v_mfma_i32_16x16x32_i8 v[224:227], a[184:185], v[148:149], v[224:227]// 0000000062E8: D3D700E0 0F8329B8
	v_mfma_i32_16x16x32_i8 v[224:227], a[186:187], v[150:151], v[224:227]// 0000000062F0: D3D700E0 0F832DBA
	buffer_load_dwordx4 a[88:91], v42, s[12:15], 0 offen       // 0000000062F8: E05C1000 8083582A
	v_mfma_i32_16x16x32_i8 v[228:231], a[184:185], v[172:173], v[228:231]// 000000006300: D3D700E4 0F9359B8
	v_mfma_i32_16x16x32_i8 v[228:231], a[186:187], v[174:175], v[228:231]// 000000006308: D3D700E4 0F935DBA
	v_mfma_i32_16x16x32_i8 v[232:235], a[188:189], v[148:149], v[232:235]// 000000006310: D3D700E8 0FA329BC
	v_mfma_i32_16x16x32_i8 v[232:235], a[190:191], v[150:151], v[232:235]// 000000006318: D3D700E8 0FA32DBE
	buffer_load_dwordx4 a[92:95], v43, s[12:15], 0 offen       // 000000006320: E05C1000 80835C2B
	v_mfma_i32_16x16x32_i8 v[236:239], a[188:189], v[172:173], v[236:239]// 000000006328: D3D700EC 0FB359BC
	v_mfma_i32_16x16x32_i8 v[236:239], a[190:191], v[174:175], v[236:239]// 000000006330: D3D700EC 0FB35DBE
	s_add_u32 s60, 0x200, s80                                  // 000000006338: 803C50FF 00000200
	s_cmp_lt_u32 s60, s81                                      // 000000006340: BF0A513C
	s_cselect_b32 s56, s56, 0                                  // 000000006344: 85388038
	s_cselect_b32 s78, s78, 0                                  // 000000006348: 854E804E
	s_cselect_b32 s79, s79, 0                                  // 00000000634C: 854F804F
	s_add_u32 s12, s56, s12                                    // 000000006350: 800C0C38
	s_addc_u32 s13, 0, s13                                     // 000000006354: 820D0D80
	s_add_u32 s16, s79, s16                                    // 000000006358: 8010104F
	s_addc_u32 s17, 0, s17                                     // 00000000635C: 82111180
	v_cvt_f32_i32_e32 v208, v208                               // 000000006360: 7FA00BD0
	v_cvt_f32_i32_e32 v209, v209                               // 000000006364: 7FA20BD1
	v_cvt_f32_i32_e32 v210, v210                               // 000000006368: 7FA40BD2
	v_cvt_f32_i32_e32 v211, v211                               // 00000000636C: 7FA60BD3
	v_mul_f32_e32 v208, v24, v208                              // 000000006370: 0BA1A118
	v_mul_f32_e32 v209, v24, v209                              // 000000006374: 0BA3A318
	v_mul_f32_e32 v210, v24, v210                              // 000000006378: 0BA5A518
	v_mul_f32_e32 v211, v24, v211                              // 00000000637C: 0BA7A718
	v_mul_f32_dpp v208, v13, v208 row_newbcast:0 row_mask:0xf bank_mask:0xf// 000000006380: 0BA1A0FA FF01500D
	v_mul_f32_dpp v209, v13, v209 row_newbcast:1 row_mask:0xf bank_mask:0xf// 000000006388: 0BA3A2FA FF01510D
	v_mul_f32_dpp v210, v13, v210 row_newbcast:2 row_mask:0xf bank_mask:0xf// 000000006390: 0BA5A4FA FF01520D
	v_mul_f32_dpp v211, v13, v211 row_newbcast:3 row_mask:0xf bank_mask:0xf// 000000006398: 0BA7A6FA FF01530D
	v_mul_f32_e32 v208, v20, v208                              // 0000000063A0: 0BA1A114
	v_mul_f32_e32 v209, v20, v209                              // 0000000063A4: 0BA3A314
	v_mul_f32_e32 v210, v20, v210                              // 0000000063A8: 0BA5A514
	v_mul_f32_e32 v211, v20, v211                              // 0000000063AC: 0BA7A714
	v_cvt_f32_i32_e32 v212, v212                               // 0000000063B0: 7FA80BD4
	v_cvt_f32_i32_e32 v213, v213                               // 0000000063B4: 7FAA0BD5
	v_cvt_f32_i32_e32 v214, v214                               // 0000000063B8: 7FAC0BD6
	v_cvt_f32_i32_e32 v215, v215                               // 0000000063BC: 7FAE0BD7
	v_mul_f32_e32 v212, v25, v212                              // 0000000063C0: 0BA9A919
	v_mul_f32_e32 v213, v25, v213                              // 0000000063C4: 0BABAB19
	v_mul_f32_e32 v214, v25, v214                              // 0000000063C8: 0BADAD19
	v_mul_f32_e32 v215, v25, v215                              // 0000000063CC: 0BAFAF19
	v_mul_f32_dpp v212, v13, v212 row_newbcast:0 row_mask:0xf bank_mask:0xf// 0000000063D0: 0BA9A8FA FF01500D
	v_mul_f32_dpp v213, v13, v213 row_newbcast:1 row_mask:0xf bank_mask:0xf// 0000000063D8: 0BABAAFA FF01510D
	v_mul_f32_dpp v214, v13, v214 row_newbcast:2 row_mask:0xf bank_mask:0xf// 0000000063E0: 0BADACFA FF01520D
	v_mul_f32_dpp v215, v13, v215 row_newbcast:3 row_mask:0xf bank_mask:0xf// 0000000063E8: 0BAFAEFA FF01530D
	v_mul_f32_e32 v212, v21, v212                              // 0000000063F0: 0BA9A915
	v_mul_f32_e32 v213, v21, v213                              // 0000000063F4: 0BABAB15
	v_mul_f32_e32 v214, v21, v214                              // 0000000063F8: 0BADAD15
	v_mul_f32_e32 v215, v21, v215                              // 0000000063FC: 0BAFAF15
	v_cvt_f32_i32_e32 v216, v216                               // 000000006400: 7FB00BD8
	v_cvt_f32_i32_e32 v217, v217                               // 000000006404: 7FB20BD9
	v_cvt_f32_i32_e32 v218, v218                               // 000000006408: 7FB40BDA
	v_cvt_f32_i32_e32 v219, v219                               // 00000000640C: 7FB60BDB
	v_mul_f32_e32 v216, v24, v216                              // 000000006410: 0BB1B118
	v_mul_f32_e32 v217, v24, v217                              // 000000006414: 0BB3B318
	v_mul_f32_e32 v218, v24, v218                              // 000000006418: 0BB5B518
	v_mul_f32_e32 v219, v24, v219                              // 00000000641C: 0BB7B718
	v_mul_f32_dpp v216, v13, v216 row_newbcast:4 row_mask:0xf bank_mask:0xf// 000000006420: 0BB1B0FA FF01540D
	v_mul_f32_dpp v217, v13, v217 row_newbcast:5 row_mask:0xf bank_mask:0xf// 000000006428: 0BB3B2FA FF01550D
	v_mul_f32_dpp v218, v13, v218 row_newbcast:6 row_mask:0xf bank_mask:0xf// 000000006430: 0BB5B4FA FF01560D
	v_mul_f32_dpp v219, v13, v219 row_newbcast:7 row_mask:0xf bank_mask:0xf// 000000006438: 0BB7B6FA FF01570D
	v_mul_f32_e32 v216, v20, v216                              // 000000006440: 0BB1B114
	v_mul_f32_e32 v217, v20, v217                              // 000000006444: 0BB3B314
	v_mul_f32_e32 v218, v20, v218                              // 000000006448: 0BB5B514
	v_mul_f32_e32 v219, v20, v219                              // 00000000644C: 0BB7B714
	v_cvt_f32_i32_e32 v220, v220                               // 000000006450: 7FB80BDC
	v_cvt_f32_i32_e32 v221, v221                               // 000000006454: 7FBA0BDD
	v_cvt_f32_i32_e32 v222, v222                               // 000000006458: 7FBC0BDE
	v_cvt_f32_i32_e32 v223, v223                               // 00000000645C: 7FBE0BDF
	v_mul_f32_e32 v220, v25, v220                              // 000000006460: 0BB9B919
	v_mul_f32_e32 v221, v25, v221                              // 000000006464: 0BBBBB19
	v_mul_f32_e32 v222, v25, v222                              // 000000006468: 0BBDBD19
	v_mul_f32_e32 v223, v25, v223                              // 00000000646C: 0BBFBF19
	v_mul_f32_dpp v220, v13, v220 row_newbcast:4 row_mask:0xf bank_mask:0xf// 000000006470: 0BB9B8FA FF01540D
	v_mul_f32_dpp v221, v13, v221 row_newbcast:5 row_mask:0xf bank_mask:0xf// 000000006478: 0BBBBAFA FF01550D
	v_mul_f32_dpp v222, v13, v222 row_newbcast:6 row_mask:0xf bank_mask:0xf// 000000006480: 0BBDBCFA FF01560D
	v_mul_f32_dpp v223, v13, v223 row_newbcast:7 row_mask:0xf bank_mask:0xf// 000000006488: 0BBFBEFA FF01570D
	v_mul_f32_e32 v220, v21, v220                              // 000000006490: 0BB9B915
	v_mul_f32_e32 v221, v21, v221                              // 000000006494: 0BBBBB15
	v_mul_f32_e32 v222, v21, v222                              // 000000006498: 0BBDBD15
	v_mul_f32_e32 v223, v21, v223                              // 00000000649C: 0BBFBF15
	v_cvt_f32_i32_e32 v224, v224                               // 0000000064A0: 7FC00BE0
	v_cvt_f32_i32_e32 v225, v225                               // 0000000064A4: 7FC20BE1
	v_cvt_f32_i32_e32 v226, v226                               // 0000000064A8: 7FC40BE2
	v_cvt_f32_i32_e32 v227, v227                               // 0000000064AC: 7FC60BE3
	v_mul_f32_e32 v224, v24, v224                              // 0000000064B0: 0BC1C118
	v_mul_f32_e32 v225, v24, v225                              // 0000000064B4: 0BC3C318
	v_mul_f32_e32 v226, v24, v226                              // 0000000064B8: 0BC5C518
	v_mul_f32_e32 v227, v24, v227                              // 0000000064BC: 0BC7C718
	v_mul_f32_dpp v224, v13, v224 row_newbcast:8 row_mask:0xf bank_mask:0xf// 0000000064C0: 0BC1C0FA FF01580D
	v_mul_f32_dpp v225, v13, v225 row_newbcast:9 row_mask:0xf bank_mask:0xf// 0000000064C8: 0BC3C2FA FF01590D
	v_mul_f32_dpp v226, v13, v226 row_newbcast:10 row_mask:0xf bank_mask:0xf// 0000000064D0: 0BC5C4FA FF015A0D
	v_mul_f32_dpp v227, v13, v227 row_newbcast:11 row_mask:0xf bank_mask:0xf// 0000000064D8: 0BC7C6FA FF015B0D
	v_mul_f32_e32 v224, v20, v224                              // 0000000064E0: 0BC1C114
	v_mul_f32_e32 v225, v20, v225                              // 0000000064E4: 0BC3C314
	v_mul_f32_e32 v226, v20, v226                              // 0000000064E8: 0BC5C514
	v_mul_f32_e32 v227, v20, v227                              // 0000000064EC: 0BC7C714
	v_cvt_f32_i32_e32 v228, v228                               // 0000000064F0: 7FC80BE4
	v_cvt_f32_i32_e32 v229, v229                               // 0000000064F4: 7FCA0BE5
	v_cvt_f32_i32_e32 v230, v230                               // 0000000064F8: 7FCC0BE6
	v_cvt_f32_i32_e32 v231, v231                               // 0000000064FC: 7FCE0BE7
	v_mul_f32_e32 v228, v25, v228                              // 000000006500: 0BC9C919
	v_mul_f32_e32 v229, v25, v229                              // 000000006504: 0BCBCB19
	v_mul_f32_e32 v230, v25, v230                              // 000000006508: 0BCDCD19
	v_mul_f32_e32 v231, v25, v231                              // 00000000650C: 0BCFCF19
	v_mul_f32_dpp v228, v13, v228 row_newbcast:8 row_mask:0xf bank_mask:0xf// 000000006510: 0BC9C8FA FF01580D
	v_mul_f32_dpp v229, v13, v229 row_newbcast:9 row_mask:0xf bank_mask:0xf// 000000006518: 0BCBCAFA FF01590D
	v_mul_f32_dpp v230, v13, v230 row_newbcast:10 row_mask:0xf bank_mask:0xf// 000000006520: 0BCDCCFA FF015A0D
	v_mul_f32_dpp v231, v13, v231 row_newbcast:11 row_mask:0xf bank_mask:0xf// 000000006528: 0BCFCEFA FF015B0D
	v_mul_f32_e32 v228, v21, v228                              // 000000006530: 0BC9C915
	v_mul_f32_e32 v229, v21, v229                              // 000000006534: 0BCBCB15
	v_mul_f32_e32 v230, v21, v230                              // 000000006538: 0BCDCD15
	v_mul_f32_e32 v231, v21, v231                              // 00000000653C: 0BCFCF15
	v_cvt_f32_i32_e32 v232, v232                               // 000000006540: 7FD00BE8
	v_cvt_f32_i32_e32 v233, v233                               // 000000006544: 7FD20BE9
	v_cvt_f32_i32_e32 v234, v234                               // 000000006548: 7FD40BEA
	v_cvt_f32_i32_e32 v235, v235                               // 00000000654C: 7FD60BEB
	v_mul_f32_e32 v232, v24, v232                              // 000000006550: 0BD1D118
	v_mul_f32_e32 v233, v24, v233                              // 000000006554: 0BD3D318
	v_mul_f32_e32 v234, v24, v234                              // 000000006558: 0BD5D518
	v_mul_f32_e32 v235, v24, v235                              // 00000000655C: 0BD7D718
	v_mul_f32_dpp v232, v13, v232 row_newbcast:12 row_mask:0xf bank_mask:0xf// 000000006560: 0BD1D0FA FF015C0D
	v_mul_f32_dpp v233, v13, v233 row_newbcast:13 row_mask:0xf bank_mask:0xf// 000000006568: 0BD3D2FA FF015D0D
	v_mul_f32_dpp v234, v13, v234 row_newbcast:14 row_mask:0xf bank_mask:0xf// 000000006570: 0BD5D4FA FF015E0D
	v_mul_f32_dpp v235, v13, v235 row_newbcast:15 row_mask:0xf bank_mask:0xf// 000000006578: 0BD7D6FA FF015F0D
	v_mul_f32_e32 v232, v20, v232                              // 000000006580: 0BD1D114
	v_mul_f32_e32 v233, v20, v233                              // 000000006584: 0BD3D314
	v_mul_f32_e32 v234, v20, v234                              // 000000006588: 0BD5D514
	v_mul_f32_e32 v235, v20, v235                              // 00000000658C: 0BD7D714
	v_cvt_f32_i32_e32 v236, v236                               // 000000006590: 7FD80BEC
	v_cvt_f32_i32_e32 v237, v237                               // 000000006594: 7FDA0BED
	v_cvt_f32_i32_e32 v238, v238                               // 000000006598: 7FDC0BEE
	v_cvt_f32_i32_e32 v239, v239                               // 00000000659C: 7FDE0BEF
	v_mul_f32_e32 v236, v25, v236                              // 0000000065A0: 0BD9D919
	v_mul_f32_e32 v237, v25, v237                              // 0000000065A4: 0BDBDB19
	v_mul_f32_e32 v238, v25, v238                              // 0000000065A8: 0BDDDD19
	v_mul_f32_e32 v239, v25, v239                              // 0000000065AC: 0BDFDF19
	v_mul_f32_dpp v236, v13, v236 row_newbcast:12 row_mask:0xf bank_mask:0xf// 0000000065B0: 0BD9D8FA FF015C0D
	v_mul_f32_dpp v237, v13, v237 row_newbcast:13 row_mask:0xf bank_mask:0xf// 0000000065B8: 0BDBDAFA FF015D0D
	v_mul_f32_dpp v238, v13, v238 row_newbcast:14 row_mask:0xf bank_mask:0xf// 0000000065C0: 0BDDDCFA FF015E0D
	v_mul_f32_dpp v239, v13, v239 row_newbcast:15 row_mask:0xf bank_mask:0xf// 0000000065C8: 0BDFDEFA FF015F0D
	v_mul_f32_e32 v236, v21, v236                              // 0000000065D0: 0BD9D915
	v_mul_f32_e32 v237, v21, v237                              // 0000000065D4: 0BDBDB15
	v_mul_f32_e32 v238, v21, v238                              // 0000000065D8: 0BDDDD15
	v_mul_f32_e32 v239, v21, v239                              // 0000000065DC: 0BDFDF15
	v_cmp_u_f32_e64 s[48:49], v208, v208                       // 0000000065E0: D0480030 0003A1D0
	v_add3_u32 v44, v208, v47, 1                               // 0000000065E8: D1FF002C 02065FD0
	v_cndmask_b32_e64 v48, v44, v46, s[48:49]                  // 0000000065F0: D1000030 00C25D2C
	v_cmp_u_f32_e64 s[48:49], v209, v209                       // 0000000065F8: D0480030 0003A3D1
	v_add3_u32 v44, v209, v47, 1                               // 000000006600: D1FF002C 02065FD1
	v_cndmask_b32_e64 v49, v44, v46, s[48:49]                  // 000000006608: D1000031 00C25D2C
	v_perm_b32 v208, v49, v48, s52                             // 000000006610: D1ED00D0 00D26131
	v_cmp_u_f32_e64 s[48:49], v210, v210                       // 000000006618: D0480030 0003A5D2
	v_add3_u32 v44, v210, v47, 1                               // 000000006620: D1FF002C 02065FD2
	v_cndmask_b32_e64 v48, v44, v46, s[48:49]                  // 000000006628: D1000030 00C25D2C
	v_cmp_u_f32_e64 s[48:49], v211, v211                       // 000000006630: D0480030 0003A7D3
	v_add3_u32 v44, v211, v47, 1                               // 000000006638: D1FF002C 02065FD3
	v_cndmask_b32_e64 v49, v44, v46, s[48:49]                  // 000000006640: D1000031 00C25D2C
	v_perm_b32 v209, v49, v48, s52                             // 000000006648: D1ED00D1 00D26131
	v_cmp_u_f32_e64 s[48:49], v212, v212                       // 000000006650: D0480030 0003A9D4
	v_add3_u32 v44, v212, v47, 1                               // 000000006658: D1FF002C 02065FD4
	v_cndmask_b32_e64 v48, v44, v46, s[48:49]                  // 000000006660: D1000030 00C25D2C
	v_cmp_u_f32_e64 s[48:49], v213, v213                       // 000000006668: D0480030 0003ABD5
	v_add3_u32 v44, v213, v47, 1                               // 000000006670: D1FF002C 02065FD5
	v_cndmask_b32_e64 v49, v44, v46, s[48:49]                  // 000000006678: D1000031 00C25D2C
	v_perm_b32 v210, v49, v48, s52                             // 000000006680: D1ED00D2 00D26131
	v_cmp_u_f32_e64 s[48:49], v214, v214                       // 000000006688: D0480030 0003ADD6
	v_add3_u32 v44, v214, v47, 1                               // 000000006690: D1FF002C 02065FD6
	v_cndmask_b32_e64 v48, v44, v46, s[48:49]                  // 000000006698: D1000030 00C25D2C
	v_cmp_u_f32_e64 s[48:49], v215, v215                       // 0000000066A0: D0480030 0003AFD7
	v_add3_u32 v44, v215, v47, 1                               // 0000000066A8: D1FF002C 02065FD7
	v_cndmask_b32_e64 v49, v44, v46, s[48:49]                  // 0000000066B0: D1000031 00C25D2C
	v_perm_b32 v211, v49, v48, s52                             // 0000000066B8: D1ED00D3 00D26131
	v_cmp_u_f32_e64 s[48:49], v216, v216                       // 0000000066C0: D0480030 0003B1D8
	v_add3_u32 v44, v216, v47, 1                               // 0000000066C8: D1FF002C 02065FD8
	v_cndmask_b32_e64 v48, v44, v46, s[48:49]                  // 0000000066D0: D1000030 00C25D2C
	v_cmp_u_f32_e64 s[48:49], v217, v217                       // 0000000066D8: D0480030 0003B3D9
	v_add3_u32 v44, v217, v47, 1                               // 0000000066E0: D1FF002C 02065FD9
	v_cndmask_b32_e64 v49, v44, v46, s[48:49]                  // 0000000066E8: D1000031 00C25D2C
	v_perm_b32 v212, v49, v48, s52                             // 0000000066F0: D1ED00D4 00D26131
	v_cmp_u_f32_e64 s[48:49], v218, v218                       // 0000000066F8: D0480030 0003B5DA
	v_add3_u32 v44, v218, v47, 1                               // 000000006700: D1FF002C 02065FDA
	v_cndmask_b32_e64 v48, v44, v46, s[48:49]                  // 000000006708: D1000030 00C25D2C
	v_cmp_u_f32_e64 s[48:49], v219, v219                       // 000000006710: D0480030 0003B7DB
	v_add3_u32 v44, v219, v47, 1                               // 000000006718: D1FF002C 02065FDB
	v_cndmask_b32_e64 v49, v44, v46, s[48:49]                  // 000000006720: D1000031 00C25D2C
	v_perm_b32 v213, v49, v48, s52                             // 000000006728: D1ED00D5 00D26131
	v_cmp_u_f32_e64 s[48:49], v220, v220                       // 000000006730: D0480030 0003B9DC
	v_add3_u32 v44, v220, v47, 1                               // 000000006738: D1FF002C 02065FDC
	v_cndmask_b32_e64 v48, v44, v46, s[48:49]                  // 000000006740: D1000030 00C25D2C
	v_cmp_u_f32_e64 s[48:49], v221, v221                       // 000000006748: D0480030 0003BBDD
	v_add3_u32 v44, v221, v47, 1                               // 000000006750: D1FF002C 02065FDD
	v_cndmask_b32_e64 v49, v44, v46, s[48:49]                  // 000000006758: D1000031 00C25D2C
	v_perm_b32 v214, v49, v48, s52                             // 000000006760: D1ED00D6 00D26131
	v_cmp_u_f32_e64 s[48:49], v222, v222                       // 000000006768: D0480030 0003BDDE
	v_add3_u32 v44, v222, v47, 1                               // 000000006770: D1FF002C 02065FDE
	v_cndmask_b32_e64 v48, v44, v46, s[48:49]                  // 000000006778: D1000030 00C25D2C
	v_cmp_u_f32_e64 s[48:49], v223, v223                       // 000000006780: D0480030 0003BFDF
	v_add3_u32 v44, v223, v47, 1                               // 000000006788: D1FF002C 02065FDF
	v_cndmask_b32_e64 v49, v44, v46, s[48:49]                  // 000000006790: D1000031 00C25D2C
	v_perm_b32 v215, v49, v48, s52                             // 000000006798: D1ED00D7 00D26131
	v_cmp_u_f32_e64 s[48:49], v224, v224                       // 0000000067A0: D0480030 0003C1E0
	v_add3_u32 v44, v224, v47, 1                               // 0000000067A8: D1FF002C 02065FE0
	v_cndmask_b32_e64 v48, v44, v46, s[48:49]                  // 0000000067B0: D1000030 00C25D2C
	v_cmp_u_f32_e64 s[48:49], v225, v225                       // 0000000067B8: D0480030 0003C3E1
	v_add3_u32 v44, v225, v47, 1                               // 0000000067C0: D1FF002C 02065FE1
	v_cndmask_b32_e64 v49, v44, v46, s[48:49]                  // 0000000067C8: D1000031 00C25D2C
	v_perm_b32 v216, v49, v48, s52                             // 0000000067D0: D1ED00D8 00D26131
	v_cmp_u_f32_e64 s[48:49], v226, v226                       // 0000000067D8: D0480030 0003C5E2
	v_add3_u32 v44, v226, v47, 1                               // 0000000067E0: D1FF002C 02065FE2
	v_cndmask_b32_e64 v48, v44, v46, s[48:49]                  // 0000000067E8: D1000030 00C25D2C
	v_cmp_u_f32_e64 s[48:49], v227, v227                       // 0000000067F0: D0480030 0003C7E3
	v_add3_u32 v44, v227, v47, 1                               // 0000000067F8: D1FF002C 02065FE3
	v_cndmask_b32_e64 v49, v44, v46, s[48:49]                  // 000000006800: D1000031 00C25D2C
	v_perm_b32 v217, v49, v48, s52                             // 000000006808: D1ED00D9 00D26131
	v_cmp_u_f32_e64 s[48:49], v228, v228                       // 000000006810: D0480030 0003C9E4
	v_add3_u32 v44, v228, v47, 1                               // 000000006818: D1FF002C 02065FE4
	v_cndmask_b32_e64 v48, v44, v46, s[48:49]                  // 000000006820: D1000030 00C25D2C
	v_cmp_u_f32_e64 s[48:49], v229, v229                       // 000000006828: D0480030 0003CBE5
	v_add3_u32 v44, v229, v47, 1                               // 000000006830: D1FF002C 02065FE5
	v_cndmask_b32_e64 v49, v44, v46, s[48:49]                  // 000000006838: D1000031 00C25D2C
	v_perm_b32 v218, v49, v48, s52                             // 000000006840: D1ED00DA 00D26131
	v_cmp_u_f32_e64 s[48:49], v230, v230                       // 000000006848: D0480030 0003CDE6
	v_add3_u32 v44, v230, v47, 1                               // 000000006850: D1FF002C 02065FE6
	v_cndmask_b32_e64 v48, v44, v46, s[48:49]                  // 000000006858: D1000030 00C25D2C
	v_cmp_u_f32_e64 s[48:49], v231, v231                       // 000000006860: D0480030 0003CFE7
	v_add3_u32 v44, v231, v47, 1                               // 000000006868: D1FF002C 02065FE7
	v_cndmask_b32_e64 v49, v44, v46, s[48:49]                  // 000000006870: D1000031 00C25D2C
	v_perm_b32 v219, v49, v48, s52                             // 000000006878: D1ED00DB 00D26131
	v_cmp_u_f32_e64 s[48:49], v232, v232                       // 000000006880: D0480030 0003D1E8
	v_add3_u32 v44, v232, v47, 1                               // 000000006888: D1FF002C 02065FE8
	v_cndmask_b32_e64 v48, v44, v46, s[48:49]                  // 000000006890: D1000030 00C25D2C
	v_cmp_u_f32_e64 s[48:49], v233, v233                       // 000000006898: D0480030 0003D3E9
	v_add3_u32 v44, v233, v47, 1                               // 0000000068A0: D1FF002C 02065FE9
	v_cndmask_b32_e64 v49, v44, v46, s[48:49]                  // 0000000068A8: D1000031 00C25D2C
	v_perm_b32 v220, v49, v48, s52                             // 0000000068B0: D1ED00DC 00D26131
	v_cmp_u_f32_e64 s[48:49], v234, v234                       // 0000000068B8: D0480030 0003D5EA
	v_add3_u32 v44, v234, v47, 1                               // 0000000068C0: D1FF002C 02065FEA
	v_cndmask_b32_e64 v48, v44, v46, s[48:49]                  // 0000000068C8: D1000030 00C25D2C
	v_cmp_u_f32_e64 s[48:49], v235, v235                       // 0000000068D0: D0480030 0003D7EB
	v_add3_u32 v44, v235, v47, 1                               // 0000000068D8: D1FF002C 02065FEB
	v_cndmask_b32_e64 v49, v44, v46, s[48:49]                  // 0000000068E0: D1000031 00C25D2C
	v_perm_b32 v221, v49, v48, s52                             // 0000000068E8: D1ED00DD 00D26131
	v_cmp_u_f32_e64 s[48:49], v236, v236                       // 0000000068F0: D0480030 0003D9EC
	v_add3_u32 v44, v236, v47, 1                               // 0000000068F8: D1FF002C 02065FEC
	v_cndmask_b32_e64 v48, v44, v46, s[48:49]                  // 000000006900: D1000030 00C25D2C
	v_cmp_u_f32_e64 s[48:49], v237, v237                       // 000000006908: D0480030 0003DBED
	v_add3_u32 v44, v237, v47, 1                               // 000000006910: D1FF002C 02065FED
	v_cndmask_b32_e64 v49, v44, v46, s[48:49]                  // 000000006918: D1000031 00C25D2C
	v_perm_b32 v222, v49, v48, s52                             // 000000006920: D1ED00DE 00D26131
	v_cmp_u_f32_e64 s[48:49], v238, v238                       // 000000006928: D0480030 0003DDEE
	v_add3_u32 v44, v238, v47, 1                               // 000000006930: D1FF002C 02065FEE
	v_cndmask_b32_e64 v48, v44, v46, s[48:49]                  // 000000006938: D1000030 00C25D2C
	v_cmp_u_f32_e64 s[48:49], v239, v239                       // 000000006940: D0480030 0003DFEF
	v_add3_u32 v44, v239, v47, 1                               // 000000006948: D1FF002C 02065FEF
	v_cndmask_b32_e64 v49, v44, v46, s[48:49]                  // 000000006950: D1000031 00C25D2C
	v_perm_b32 v223, v49, v48, s52                             // 000000006958: D1ED00DF 00D26131
	ds_write_b64 v3, v[208:209] offset:30976                   // 000000006960: D89A7900 0000D003
	ds_write_b64 v3, v[210:211] offset:39680                   // 000000006968: D89A9B00 0000D203
	ds_write_b64 v3, v[212:213] offset:33152                   // 000000006970: D89A8180 0000D403
	ds_write_b64 v3, v[214:215] offset:41856                   // 000000006978: D89AA380 0000D603
	ds_write_b64 v3, v[216:217] offset:35328                   // 000000006980: D89A8A00 0000D803
	ds_write_b64 v3, v[218:219] offset:44032                   // 000000006988: D89AAC00 0000DA03
	ds_write_b64 v3, v[220:221] offset:37504                   // 000000006990: D89A9280 0000DC03
	ds_write_b64 v3, v[222:223] offset:46208                   // 000000006998: D89AB480 0000DE03
	s_waitcnt lgkmcnt(0)                                       // 0000000069A0: BF8CC07F
	s_barrier                                                  // 0000000069A4: BF8A0000
	ds_read_b32 v64, v4 offset:30976                           // 0000000069A8: D86C7900 40000004
	ds_read_b32 v65, v4 offset:35328                           // 0000000069B0: D86C8A00 41000004
	ds_read_b32 v66, v4 offset:31008                           // 0000000069B8: D86C7920 42000004
	ds_read_b32 v67, v4 offset:35360                           // 0000000069C0: D86C8A20 43000004
	ds_read_b32 v68, v4 offset:31040                           // 0000000069C8: D86C7940 44000004
	ds_read_b32 v69, v4 offset:35392                           // 0000000069D0: D86C8A40 45000004
	ds_read_b32 v70, v4 offset:31072                           // 0000000069D8: D86C7960 46000004
	ds_read_b32 v71, v4 offset:35424                           // 0000000069E0: D86C8A60 47000004
	ds_read_b32 v72, v4 offset:39680                           // 0000000069E8: D86C9B00 48000004
	ds_read_b32 v73, v4 offset:44032                           // 0000000069F0: D86CAC00 49000004
	ds_read_b32 v74, v4 offset:39712                           // 0000000069F8: D86C9B20 4A000004
	ds_read_b32 v75, v4 offset:44064                           // 000000006A00: D86CAC20 4B000004
	ds_read_b32 v76, v4 offset:39744                           // 000000006A08: D86C9B40 4C000004
	ds_read_b32 v77, v4 offset:44096                           // 000000006A10: D86CAC40 4D000004
	ds_read_b32 v78, v4 offset:39776                           // 000000006A18: D86C9B60 4E000004
	ds_read_b32 v79, v4 offset:44128                           // 000000006A20: D86CAC60 4F000004
	s_waitcnt lgkmcnt(0)                                       // 000000006A28: BF8CC07F
	s_mov_b64 exec, s[20:21]                                   // 000000006A2C: BEFE0114
	global_atomic_pk_add_bf16 v80, v64, s[8:9]                 // 000000006A30: DD488000 00084050
	s_mov_b64 exec, s[36:37]                                   // 000000006A38: BEFE0124
	s_mov_b64 exec, s[20:21]                                   // 000000006A3C: BEFE0114
	global_atomic_pk_add_bf16 v80, v65, s[8:9] offset:256      // 000000006A40: DD488100 00084150
	s_mov_b64 exec, s[36:37]                                   // 000000006A48: BEFE0124
	s_mov_b64 exec, s[22:23]                                   // 000000006A4C: BEFE0116
	global_atomic_pk_add_bf16 v82, v66, s[8:9]                 // 000000006A50: DD488000 00084252
	s_mov_b64 exec, s[36:37]                                   // 000000006A58: BEFE0124
	s_mov_b64 exec, s[22:23]                                   // 000000006A5C: BEFE0116
	global_atomic_pk_add_bf16 v82, v67, s[8:9] offset:256      // 000000006A60: DD488100 00084352
	s_mov_b64 exec, s[36:37]                                   // 000000006A68: BEFE0124
	s_mov_b64 exec, s[24:25]                                   // 000000006A6C: BEFE0118
	global_atomic_pk_add_bf16 v84, v68, s[8:9]                 // 000000006A70: DD488000 00084454
	s_mov_b64 exec, s[36:37]                                   // 000000006A78: BEFE0124
	s_mov_b64 exec, s[24:25]                                   // 000000006A7C: BEFE0118
	global_atomic_pk_add_bf16 v84, v69, s[8:9] offset:256      // 000000006A80: DD488100 00084554
	s_mov_b64 exec, s[36:37]                                   // 000000006A88: BEFE0124
	s_mov_b64 exec, s[26:27]                                   // 000000006A8C: BEFE011A
	global_atomic_pk_add_bf16 v86, v70, s[8:9]                 // 000000006A90: DD488000 00084656
	s_mov_b64 exec, s[36:37]                                   // 000000006A98: BEFE0124
	s_mov_b64 exec, s[26:27]                                   // 000000006A9C: BEFE011A
	global_atomic_pk_add_bf16 v86, v71, s[8:9] offset:256      // 000000006AA0: DD488100 00084756
	s_mov_b64 exec, s[36:37]                                   // 000000006AA8: BEFE0124
	s_mov_b64 exec, s[28:29]                                   // 000000006AAC: BEFE011C
	global_atomic_pk_add_bf16 v88, v72, s[8:9]                 // 000000006AB0: DD488000 00084858
	s_mov_b64 exec, s[36:37]                                   // 000000006AB8: BEFE0124
	s_mov_b64 exec, s[28:29]                                   // 000000006ABC: BEFE011C
	global_atomic_pk_add_bf16 v88, v73, s[8:9] offset:256      // 000000006AC0: DD488100 00084958
	s_mov_b64 exec, s[36:37]                                   // 000000006AC8: BEFE0124
	s_mov_b64 exec, s[30:31]                                   // 000000006ACC: BEFE011E
	global_atomic_pk_add_bf16 v90, v74, s[8:9]                 // 000000006AD0: DD488000 00084A5A
	s_mov_b64 exec, s[36:37]                                   // 000000006AD8: BEFE0124
	s_mov_b64 exec, s[30:31]                                   // 000000006ADC: BEFE011E
	global_atomic_pk_add_bf16 v90, v75, s[8:9] offset:256      // 000000006AE0: DD488100 00084B5A
	s_mov_b64 exec, s[36:37]                                   // 000000006AE8: BEFE0124
	s_mov_b64 exec, s[32:33]                                   // 000000006AEC: BEFE0120
	global_atomic_pk_add_bf16 v92, v76, s[8:9]                 // 000000006AF0: DD488000 00084C5C
	s_mov_b64 exec, s[36:37]                                   // 000000006AF8: BEFE0124
	s_mov_b64 exec, s[32:33]                                   // 000000006AFC: BEFE0120
	global_atomic_pk_add_bf16 v92, v77, s[8:9] offset:256      // 000000006B00: DD488100 00084D5C
	s_mov_b64 exec, s[36:37]                                   // 000000006B08: BEFE0124
	s_mov_b64 exec, s[34:35]                                   // 000000006B0C: BEFE0122
	global_atomic_pk_add_bf16 v94, v78, s[8:9]                 // 000000006B10: DD488000 00084E5E
	s_mov_b64 exec, s[36:37]                                   // 000000006B18: BEFE0124
	s_mov_b64 exec, s[34:35]                                   // 000000006B1C: BEFE0122
	global_atomic_pk_add_bf16 v94, v79, s[8:9] offset:256      // 000000006B20: DD488100 00084F5E
	s_mov_b64 exec, s[36:37]                                   // 000000006B28: BEFE0124
	s_add_u32 s8, s59, s8                                      // 000000006B2C: 8008083B
	s_addc_u32 s9, 0, s9                                       // 000000006B30: 82090980
	s_addk_i32 s80, 0x100                                      // 000000006B34: B7500100
	s_cmp_lt_i32 s80, s81                                      // 000000006B38: BF045150
	s_cbranch_scc0 label_1011                                  // 000000006B3C: BF840001
	s_branch label_0A06                                        // 000000006B40: BF82F9F5

0000000000006b44 <label_1011>:
	s_nop 0                                                    // 000000006B44: BF800000
	s_nop 0                                                    // 000000006B48: BF800000
	s_branch label_1D9F                                        // 000000006B4C: BF820D8B

0000000000006b50 <label_1014>:
	s_waitcnt vmcnt(16) lgkmcnt(0)                             // 000000006B50: BF8C4070
	s_barrier                                                  // 000000006B54: BF8A0000
	v_mfma_i32_16x16x32_i8 v[128:131], a[0:1], v[176:177], v[128:131]// 000000006B58: D3D70080 0E036100
	buffer_load_dwordx4 a[96:99], v34, s[24:27], 0 offen       // 000000006B60: E05C1000 80866022
	v_mfma_i32_16x16x32_i8 v[128:131], a[2:3], v[178:179], v[128:131]// 000000006B68: D3D70080 0E036502
	v_mfma_i32_16x16x32_i8 v[128:131], a[4:5], v[180:181], v[128:131]// 000000006B70: D3D70080 0E036904
	buffer_load_dword v26, s[20:23], 0 offen lds               // 000000006B78: E0511000 8005001A
	s_add_u32 m0, 0x100, s50                                   // 000000006B80: 807C32FF 00000100
	v_mfma_i32_16x16x32_i8 v[128:131], a[6:7], v[182:183], v[128:131]// 000000006B88: D3D70080 0E036D06
	v_mfma_i32_16x16x32_i8 v[128:131], a[8:9], v[184:185], v[128:131]// 000000006B90: D3D70080 0E037108
	buffer_load_dwordx4 a[100:103], v34, s[24:27], 0 offen offset:1024// 000000006B98: E05C1400 80866422
	v_mfma_i32_16x16x32_i8 v[128:131], a[10:11], v[186:187], v[128:131]// 000000006BA0: D3D70080 0E03750A
	v_mfma_i32_16x16x32_i8 v[128:131], a[12:13], v[188:189], v[128:131]// 000000006BA8: D3D70080 0E03790C
	buffer_load_dword v27, s[20:23], 0 offen lds               // 000000006BB0: E0511000 8005001B
	s_add_u32 m0, 0x200, s50                                   // 000000006BB8: 807C32FF 00000200
	v_mfma_i32_16x16x32_i8 v[128:131], a[14:15], v[190:191], v[128:131]// 000000006BC0: D3D70080 0E037D0E
	v_mfma_i32_16x16x32_i8 v[132:135], a[0:1], v[192:193], v[132:135]// 000000006BC8: D3D70084 0E138100
	buffer_load_dwordx4 a[104:107], v34, s[24:27], 0 offen offset:2048// 000000006BD0: E05C1800 80866822
	v_mfma_i32_16x16x32_i8 v[132:135], a[2:3], v[194:195], v[132:135]// 000000006BD8: D3D70084 0E138502
	v_mfma_i32_16x16x32_i8 v[132:135], a[4:5], v[196:197], v[132:135]// 000000006BE0: D3D70084 0E138904
	buffer_load_dword v28, s[20:23], 0 offen lds               // 000000006BE8: E0511000 8005001C
	s_add_u32 m0, 0x300, s50                                   // 000000006BF0: 807C32FF 00000300
	v_mfma_i32_16x16x32_i8 v[132:135], a[6:7], v[198:199], v[132:135]// 000000006BF8: D3D70084 0E138D06
	v_mfma_i32_16x16x32_i8 v[132:135], a[8:9], v[200:201], v[132:135]// 000000006C00: D3D70084 0E139108
	buffer_load_dwordx4 a[108:111], v34, s[24:27], 0 offen offset:3072// 000000006C08: E05C1C00 80866C22
	v_mfma_i32_16x16x32_i8 v[132:135], a[10:11], v[202:203], v[132:135]// 000000006C10: D3D70084 0E13950A
	v_mfma_i32_16x16x32_i8 v[132:135], a[12:13], v[204:205], v[132:135]// 000000006C18: D3D70084 0E13990C
	buffer_load_dword v29, s[20:23], 0 offen lds               // 000000006C20: E0511000 8005001D
	s_add_u32 m0, 0x400, s50                                   // 000000006C28: 807C32FF 00000400
	v_mfma_i32_16x16x32_i8 v[132:135], a[14:15], v[206:207], v[132:135]// 000000006C30: D3D70084 0E139D0E
	v_mfma_i32_16x16x32_i8 v[136:139], a[16:17], v[176:177], v[136:139]// 000000006C38: D3D70088 0E236110
	buffer_load_dwordx4 a[112:115], v35, s[24:27], 0 offen     // 000000006C40: E05C1000 80867023
	v_mfma_i32_16x16x32_i8 v[136:139], a[18:19], v[178:179], v[136:139]// 000000006C48: D3D70088 0E236512
	v_mfma_i32_16x16x32_i8 v[136:139], a[20:21], v[180:181], v[136:139]// 000000006C50: D3D70088 0E236914
	buffer_load_dword v30, s[20:23], 0 offen lds               // 000000006C58: E0511000 8005001E
	s_add_u32 m0, 0x500, s50                                   // 000000006C60: 807C32FF 00000500
	v_mfma_i32_16x16x32_i8 v[136:139], a[22:23], v[182:183], v[136:139]// 000000006C68: D3D70088 0E236D16
	v_mfma_i32_16x16x32_i8 v[136:139], a[24:25], v[184:185], v[136:139]// 000000006C70: D3D70088 0E237118
	buffer_load_dwordx4 a[116:119], v35, s[24:27], 0 offen offset:1024// 000000006C78: E05C1400 80867423
	v_mfma_i32_16x16x32_i8 v[136:139], a[26:27], v[186:187], v[136:139]// 000000006C80: D3D70088 0E23751A
	v_mfma_i32_16x16x32_i8 v[136:139], a[28:29], v[188:189], v[136:139]// 000000006C88: D3D70088 0E23791C
	buffer_load_dword v31, s[20:23], 0 offen lds               // 000000006C90: E0511000 8005001F
	s_add_u32 m0, 0x600, s50                                   // 000000006C98: 807C32FF 00000600
	v_mfma_i32_16x16x32_i8 v[136:139], a[30:31], v[190:191], v[136:139]// 000000006CA0: D3D70088 0E237D1E
	v_mfma_i32_16x16x32_i8 v[140:143], a[16:17], v[192:193], v[140:143]// 000000006CA8: D3D7008C 0E338110
	buffer_load_dwordx4 a[120:123], v35, s[24:27], 0 offen offset:2048// 000000006CB0: E05C1800 80867823
	v_mfma_i32_16x16x32_i8 v[140:143], a[18:19], v[194:195], v[140:143]// 000000006CB8: D3D7008C 0E338512
	v_mfma_i32_16x16x32_i8 v[140:143], a[20:21], v[196:197], v[140:143]// 000000006CC0: D3D7008C 0E338914
	buffer_load_dword v32, s[20:23], 0 offen lds               // 000000006CC8: E0511000 80050020
	s_add_u32 m0, 0x700, s50                                   // 000000006CD0: 807C32FF 00000700
	v_mfma_i32_16x16x32_i8 v[140:143], a[22:23], v[198:199], v[140:143]// 000000006CD8: D3D7008C 0E338D16
	v_mfma_i32_16x16x32_i8 v[140:143], a[24:25], v[200:201], v[140:143]// 000000006CE0: D3D7008C 0E339118
	buffer_load_dwordx4 a[124:127], v35, s[24:27], 0 offen offset:3072// 000000006CE8: E05C1C00 80867C23
	v_mfma_i32_16x16x32_i8 v[140:143], a[26:27], v[202:203], v[140:143]// 000000006CF0: D3D7008C 0E33951A
	v_mfma_i32_16x16x32_i8 v[140:143], a[28:29], v[204:205], v[140:143]// 000000006CF8: D3D7008C 0E33991C
	buffer_load_dword v33, s[20:23], 0 offen lds               // 000000006D00: E0511000 80050021
	s_add_u32 m0, 0, s51                                       // 000000006D08: 807C3380
	v_mfma_i32_16x16x32_i8 v[140:143], a[30:31], v[206:207], v[140:143]// 000000006D0C: D3D7008C 0E339D1E
	s_waitcnt vmcnt(28)                                        // 000000006D14: BF8C4F7C
	v_mfma_i32_16x16x32_i8 v[144:147], a[32:33], v[176:177], v[144:147]// 000000006D18: D3D70090 0E436120
	buffer_load_dwordx4 a[128:131], v36, s[24:27], 0 offen     // 000000006D20: E05C1000 80868024
	v_mfma_i32_16x16x32_i8 v[144:147], a[34:35], v[178:179], v[144:147]// 000000006D28: D3D70090 0E436522
	v_mfma_i32_16x16x32_i8 v[144:147], a[36:37], v[180:181], v[144:147]// 000000006D30: D3D70090 0E436924
	ds_read_b128 v[208:211], v2 offset:8320                    // 000000006D38: D9FE2080 D0000002
	v_mfma_i32_16x16x32_i8 v[144:147], a[38:39], v[182:183], v[144:147]// 000000006D40: D3D70090 0E436D26
	v_mfma_i32_16x16x32_i8 v[144:147], a[40:41], v[184:185], v[144:147]// 000000006D48: D3D70090 0E437128
	buffer_load_dwordx4 a[132:135], v36, s[24:27], 0 offen offset:1024// 000000006D50: E05C1400 80868424
	v_mfma_i32_16x16x32_i8 v[144:147], a[42:43], v[186:187], v[144:147]// 000000006D58: D3D70090 0E43752A
	v_mfma_i32_16x16x32_i8 v[144:147], a[44:45], v[188:189], v[144:147]// 000000006D60: D3D70090 0E43792C
	ds_read_b128 v[212:215], v2 offset:8384                    // 000000006D68: D9FE20C0 D4000002
	v_mfma_i32_16x16x32_i8 v[144:147], a[46:47], v[190:191], v[144:147]// 000000006D70: D3D70090 0E437D2E
	v_mfma_i32_16x16x32_i8 v[148:151], a[32:33], v[192:193], v[148:151]// 000000006D78: D3D70094 0E538120
	buffer_load_dwordx4 a[136:139], v36, s[24:27], 0 offen offset:2048// 000000006D80: E05C1800 80868824
	v_mfma_i32_16x16x32_i8 v[148:151], a[34:35], v[194:195], v[148:151]// 000000006D88: D3D70094 0E538522
	v_mfma_i32_16x16x32_i8 v[148:151], a[36:37], v[196:197], v[148:151]// 000000006D90: D3D70094 0E538924
	ds_read_b128 v[216:219], v2 offset:8448                    // 000000006D98: D9FE2100 D8000002
	v_mfma_i32_16x16x32_i8 v[148:151], a[38:39], v[198:199], v[148:151]// 000000006DA0: D3D70094 0E538D26
	v_mfma_i32_16x16x32_i8 v[148:151], a[40:41], v[200:201], v[148:151]// 000000006DA8: D3D70094 0E539128
	buffer_load_dwordx4 a[140:143], v36, s[24:27], 0 offen offset:3072// 000000006DB0: E05C1C00 80868C24
	v_mfma_i32_16x16x32_i8 v[148:151], a[42:43], v[202:203], v[148:151]// 000000006DB8: D3D70094 0E53952A
	v_mfma_i32_16x16x32_i8 v[148:151], a[44:45], v[204:205], v[148:151]// 000000006DC0: D3D70094 0E53992C
	ds_read_b128 v[220:223], v2 offset:8512                    // 000000006DC8: D9FE2140 DC000002
	v_mfma_i32_16x16x32_i8 v[148:151], a[46:47], v[206:207], v[148:151]// 000000006DD0: D3D70094 0E539D2E
	s_waitcnt vmcnt(28)                                        // 000000006DD8: BF8C4F7C
	v_mfma_i32_16x16x32_i8 v[152:155], a[48:49], v[176:177], v[152:155]// 000000006DDC: D3D70098 0E636130
	buffer_load_dwordx4 a[144:147], v37, s[24:27], 0 offen     // 000000006DE4: E05C1000 80869025
	v_mfma_i32_16x16x32_i8 v[152:155], a[50:51], v[178:179], v[152:155]// 000000006DEC: D3D70098 0E636532
	v_mfma_i32_16x16x32_i8 v[152:155], a[52:53], v[180:181], v[152:155]// 000000006DF4: D3D70098 0E636934
	ds_read_b128 v[224:227], v2 offset:9344                    // 000000006DFC: D9FE2480 E0000002
	v_mfma_i32_16x16x32_i8 v[152:155], a[54:55], v[182:183], v[152:155]// 000000006E04: D3D70098 0E636D36
	v_mfma_i32_16x16x32_i8 v[152:155], a[56:57], v[184:185], v[152:155]// 000000006E0C: D3D70098 0E637138
	buffer_load_dwordx4 a[148:151], v37, s[24:27], 0 offen offset:1024// 000000006E14: E05C1400 80869425
	v_mfma_i32_16x16x32_i8 v[152:155], a[58:59], v[186:187], v[152:155]// 000000006E1C: D3D70098 0E63753A
	v_mfma_i32_16x16x32_i8 v[152:155], a[60:61], v[188:189], v[152:155]// 000000006E24: D3D70098 0E63793C
	ds_read_b128 v[228:231], v2 offset:9408                    // 000000006E2C: D9FE24C0 E4000002
	v_mfma_i32_16x16x32_i8 v[152:155], a[62:63], v[190:191], v[152:155]// 000000006E34: D3D70098 0E637D3E
	v_mfma_i32_16x16x32_i8 v[156:159], a[48:49], v[192:193], v[156:159]// 000000006E3C: D3D7009C 0E738130
	buffer_load_dwordx4 a[152:155], v37, s[24:27], 0 offen offset:2048// 000000006E44: E05C1800 80869825
	v_mfma_i32_16x16x32_i8 v[156:159], a[50:51], v[194:195], v[156:159]// 000000006E4C: D3D7009C 0E738532
	v_mfma_i32_16x16x32_i8 v[156:159], a[52:53], v[196:197], v[156:159]// 000000006E54: D3D7009C 0E738934
	ds_read_b128 v[232:235], v2 offset:9472                    // 000000006E5C: D9FE2500 E8000002
	v_mfma_i32_16x16x32_i8 v[156:159], a[54:55], v[198:199], v[156:159]// 000000006E64: D3D7009C 0E738D36
	v_mfma_i32_16x16x32_i8 v[156:159], a[56:57], v[200:201], v[156:159]// 000000006E6C: D3D7009C 0E739138
	buffer_load_dwordx4 a[156:159], v37, s[24:27], 0 offen offset:3072// 000000006E74: E05C1C00 80869C25
	v_mfma_i32_16x16x32_i8 v[156:159], a[58:59], v[202:203], v[156:159]// 000000006E7C: D3D7009C 0E73953A
	v_mfma_i32_16x16x32_i8 v[156:159], a[60:61], v[204:205], v[156:159]// 000000006E84: D3D7009C 0E73993C
	ds_read_b128 v[236:239], v2 offset:9536                    // 000000006E8C: D9FE2540 EC000002
	v_mfma_i32_16x16x32_i8 v[156:159], a[62:63], v[206:207], v[156:159]// 000000006E94: D3D7009C 0E739D3E
	s_waitcnt vmcnt(28)                                        // 000000006E9C: BF8C4F7C
	v_mfma_i32_16x16x32_i8 v[160:163], a[64:65], v[176:177], v[160:163]// 000000006EA0: D3D700A0 0E836140
	buffer_load_dwordx4 a[160:163], v38, s[24:27], 0 offen     // 000000006EA8: E05C1000 8086A026
	v_mfma_i32_16x16x32_i8 v[160:163], a[66:67], v[178:179], v[160:163]// 000000006EB0: D3D700A0 0E836542
	v_mfma_i32_16x16x32_i8 v[160:163], a[68:69], v[180:181], v[160:163]// 000000006EB8: D3D700A0 0E836944
	v_mfma_i32_16x16x32_i8 v[160:163], a[70:71], v[182:183], v[160:163]// 000000006EC0: D3D700A0 0E836D46
	v_mfma_i32_16x16x32_i8 v[160:163], a[72:73], v[184:185], v[160:163]// 000000006EC8: D3D700A0 0E837148
	buffer_load_dwordx4 a[164:167], v38, s[24:27], 0 offen offset:1024// 000000006ED0: E05C1400 8086A426
	v_mfma_i32_16x16x32_i8 v[160:163], a[74:75], v[186:187], v[160:163]// 000000006ED8: D3D700A0 0E83754A
	v_mfma_i32_16x16x32_i8 v[160:163], a[76:77], v[188:189], v[160:163]// 000000006EE0: D3D700A0 0E83794C
	v_mfma_i32_16x16x32_i8 v[160:163], a[78:79], v[190:191], v[160:163]// 000000006EE8: D3D700A0 0E837D4E
	v_mfma_i32_16x16x32_i8 v[164:167], a[64:65], v[192:193], v[164:167]// 000000006EF0: D3D700A4 0E938140
	buffer_load_dwordx4 a[168:171], v38, s[24:27], 0 offen offset:2048// 000000006EF8: E05C1800 8086A826
	v_mfma_i32_16x16x32_i8 v[164:167], a[66:67], v[194:195], v[164:167]// 000000006F00: D3D700A4 0E938542
	v_mfma_i32_16x16x32_i8 v[164:167], a[68:69], v[196:197], v[164:167]// 000000006F08: D3D700A4 0E938944
	v_mfma_i32_16x16x32_i8 v[164:167], a[70:71], v[198:199], v[164:167]// 000000006F10: D3D700A4 0E938D46
	v_mfma_i32_16x16x32_i8 v[164:167], a[72:73], v[200:201], v[164:167]// 000000006F18: D3D700A4 0E939148
	buffer_load_dwordx4 a[172:175], v38, s[24:27], 0 offen offset:3072// 000000006F20: E05C1C00 8086AC26
	v_mfma_i32_16x16x32_i8 v[164:167], a[74:75], v[202:203], v[164:167]// 000000006F28: D3D700A4 0E93954A
	v_mfma_i32_16x16x32_i8 v[164:167], a[76:77], v[204:205], v[164:167]// 000000006F30: D3D700A4 0E93994C
	v_mfma_i32_16x16x32_i8 v[164:167], a[78:79], v[206:207], v[164:167]// 000000006F38: D3D700A4 0E939D4E
	s_waitcnt vmcnt(28)                                        // 000000006F40: BF8C4F7C
	v_mfma_i32_16x16x32_i8 v[168:171], a[80:81], v[176:177], v[168:171]// 000000006F44: D3D700A8 0EA36150
	buffer_load_dwordx4 a[176:179], v39, s[24:27], 0 offen     // 000000006F4C: E05C1000 8086B027
	v_mfma_i32_16x16x32_i8 v[168:171], a[82:83], v[178:179], v[168:171]// 000000006F54: D3D700A8 0EA36552
	v_mfma_i32_16x16x32_i8 v[168:171], a[84:85], v[180:181], v[168:171]// 000000006F5C: D3D700A8 0EA36954
	v_mfma_i32_16x16x32_i8 v[168:171], a[86:87], v[182:183], v[168:171]// 000000006F64: D3D700A8 0EA36D56
	v_mfma_i32_16x16x32_i8 v[168:171], a[88:89], v[184:185], v[168:171]// 000000006F6C: D3D700A8 0EA37158
	buffer_load_dwordx4 a[180:183], v39, s[24:27], 0 offen offset:1024// 000000006F74: E05C1400 8086B427
	v_mfma_i32_16x16x32_i8 v[168:171], a[90:91], v[186:187], v[168:171]// 000000006F7C: D3D700A8 0EA3755A
	v_mfma_i32_16x16x32_i8 v[168:171], a[92:93], v[188:189], v[168:171]// 000000006F84: D3D700A8 0EA3795C
	v_mfma_i32_16x16x32_i8 v[168:171], a[94:95], v[190:191], v[168:171]// 000000006F8C: D3D700A8 0EA37D5E
	v_mfma_i32_16x16x32_i8 v[172:175], a[80:81], v[192:193], v[172:175]// 000000006F94: D3D700AC 0EB38150
	buffer_load_dwordx4 a[184:187], v39, s[24:27], 0 offen offset:2048// 000000006F9C: E05C1800 8086B827
	v_mfma_i32_16x16x32_i8 v[172:175], a[82:83], v[194:195], v[172:175]// 000000006FA4: D3D700AC 0EB38552
	v_mfma_i32_16x16x32_i8 v[172:175], a[84:85], v[196:197], v[172:175]// 000000006FAC: D3D700AC 0EB38954
	v_mfma_i32_16x16x32_i8 v[172:175], a[86:87], v[198:199], v[172:175]// 000000006FB4: D3D700AC 0EB38D56
	v_mfma_i32_16x16x32_i8 v[172:175], a[88:89], v[200:201], v[172:175]// 000000006FBC: D3D700AC 0EB39158
	buffer_load_dwordx4 a[188:191], v39, s[24:27], 0 offen offset:3072// 000000006FC4: E05C1C00 8086BC27
	v_mfma_i32_16x16x32_i8 v[172:175], a[90:91], v[202:203], v[172:175]// 000000006FCC: D3D700AC 0EB3955A
	v_mfma_i32_16x16x32_i8 v[172:175], a[92:93], v[204:205], v[172:175]// 000000006FD4: D3D700AC 0EB3995C
	v_mfma_i32_16x16x32_i8 v[172:175], a[94:95], v[206:207], v[172:175]// 000000006FDC: D3D700AC 0EB39D5E
	s_add_u32 s60, 0x300, s80                                  // 000000006FE4: 803C50FF 00000300
	s_cmp_lt_u32 s60, s81                                      // 000000006FEC: BF0A513C
	s_cselect_b32 s57, s57, 0                                  // 000000006FF0: 85398039
	s_add_u32 s60, 0x200, s80                                  // 000000006FF4: 803C50FF 00000200
	s_cmp_lt_u32 s60, s81                                      // 000000006FFC: BF0A513C
	s_cselect_b32 s58, s58, 0                                  // 000000007000: 853A803A
	s_add_u32 s20, s57, s20                                    // 000000007004: 80141439
	s_addc_u32 s21, 0, s21                                     // 000000007008: 82151580
	s_add_u32 s24, s58, s24                                    // 00000000700C: 8018183A
	s_addc_u32 s25, 0, s25                                     // 000000007010: 82191980
	s_addk_i32 s80, 0x100                                      // 000000007014: B7500100
	s_cmp_lt_i32 s80, s81                                      // 000000007018: BF045150
	s_cbranch_scc0 label_127D                                  // 00000000701C: BF840135
	s_waitcnt vmcnt(16) lgkmcnt(0)                             // 000000007020: BF8C4070
	s_barrier                                                  // 000000007024: BF8A0000
	v_mfma_i32_16x16x32_i8 v[128:131], a[96:97], v[208:209], v[128:131]// 000000007028: D3D70080 0E03A160
	buffer_load_dwordx4 a[0:3], v34, s[24:27], 0 offen         // 000000007030: E05C1000 80860022
	v_mfma_i32_16x16x32_i8 v[128:131], a[98:99], v[210:211], v[128:131]// 000000007038: D3D70080 0E03A562
	v_mfma_i32_16x16x32_i8 v[128:131], a[100:101], v[212:213], v[128:131]// 000000007040: D3D70080 0E03A964
	buffer_load_dword v26, s[20:23], 0 offen lds               // 000000007048: E0511000 8005001A
	s_add_u32 m0, 0x100, s51                                   // 000000007050: 807C33FF 00000100
	v_mfma_i32_16x16x32_i8 v[128:131], a[102:103], v[214:215], v[128:131]// 000000007058: D3D70080 0E03AD66
	v_mfma_i32_16x16x32_i8 v[128:131], a[104:105], v[216:217], v[128:131]// 000000007060: D3D70080 0E03B168
	buffer_load_dwordx4 a[4:7], v34, s[24:27], 0 offen offset:1024// 000000007068: E05C1400 80860422
	v_mfma_i32_16x16x32_i8 v[128:131], a[106:107], v[218:219], v[128:131]// 000000007070: D3D70080 0E03B56A
	v_mfma_i32_16x16x32_i8 v[128:131], a[108:109], v[220:221], v[128:131]// 000000007078: D3D70080 0E03B96C
	buffer_load_dword v27, s[20:23], 0 offen lds               // 000000007080: E0511000 8005001B
	s_add_u32 m0, 0x200, s51                                   // 000000007088: 807C33FF 00000200
	v_mfma_i32_16x16x32_i8 v[128:131], a[110:111], v[222:223], v[128:131]// 000000007090: D3D70080 0E03BD6E
	v_mfma_i32_16x16x32_i8 v[132:135], a[96:97], v[224:225], v[132:135]// 000000007098: D3D70084 0E13C160
	buffer_load_dwordx4 a[8:11], v34, s[24:27], 0 offen offset:2048// 0000000070A0: E05C1800 80860822
	v_mfma_i32_16x16x32_i8 v[132:135], a[98:99], v[226:227], v[132:135]// 0000000070A8: D3D70084 0E13C562
	v_mfma_i32_16x16x32_i8 v[132:135], a[100:101], v[228:229], v[132:135]// 0000000070B0: D3D70084 0E13C964
	buffer_load_dword v28, s[20:23], 0 offen lds               // 0000000070B8: E0511000 8005001C
	s_add_u32 m0, 0x300, s51                                   // 0000000070C0: 807C33FF 00000300
	v_mfma_i32_16x16x32_i8 v[132:135], a[102:103], v[230:231], v[132:135]// 0000000070C8: D3D70084 0E13CD66
	v_mfma_i32_16x16x32_i8 v[132:135], a[104:105], v[232:233], v[132:135]// 0000000070D0: D3D70084 0E13D168
	buffer_load_dwordx4 a[12:15], v34, s[24:27], 0 offen offset:3072// 0000000070D8: E05C1C00 80860C22
	v_mfma_i32_16x16x32_i8 v[132:135], a[106:107], v[234:235], v[132:135]// 0000000070E0: D3D70084 0E13D56A
	v_mfma_i32_16x16x32_i8 v[132:135], a[108:109], v[236:237], v[132:135]// 0000000070E8: D3D70084 0E13D96C
	buffer_load_dword v29, s[20:23], 0 offen lds               // 0000000070F0: E0511000 8005001D
	s_add_u32 m0, 0x400, s51                                   // 0000000070F8: 807C33FF 00000400
	v_mfma_i32_16x16x32_i8 v[132:135], a[110:111], v[238:239], v[132:135]// 000000007100: D3D70084 0E13DD6E
	v_mfma_i32_16x16x32_i8 v[136:139], a[112:113], v[208:209], v[136:139]// 000000007108: D3D70088 0E23A170
	buffer_load_dwordx4 a[16:19], v35, s[24:27], 0 offen       // 000000007110: E05C1000 80861023
	v_mfma_i32_16x16x32_i8 v[136:139], a[114:115], v[210:211], v[136:139]// 000000007118: D3D70088 0E23A572
	v_mfma_i32_16x16x32_i8 v[136:139], a[116:117], v[212:213], v[136:139]// 000000007120: D3D70088 0E23A974
	buffer_load_dword v30, s[20:23], 0 offen lds               // 000000007128: E0511000 8005001E
	s_add_u32 m0, 0x500, s51                                   // 000000007130: 807C33FF 00000500
	v_mfma_i32_16x16x32_i8 v[136:139], a[118:119], v[214:215], v[136:139]// 000000007138: D3D70088 0E23AD76
	v_mfma_i32_16x16x32_i8 v[136:139], a[120:121], v[216:217], v[136:139]// 000000007140: D3D70088 0E23B178
	buffer_load_dwordx4 a[20:23], v35, s[24:27], 0 offen offset:1024// 000000007148: E05C1400 80861423
	v_mfma_i32_16x16x32_i8 v[136:139], a[122:123], v[218:219], v[136:139]// 000000007150: D3D70088 0E23B57A
	v_mfma_i32_16x16x32_i8 v[136:139], a[124:125], v[220:221], v[136:139]// 000000007158: D3D70088 0E23B97C
	buffer_load_dword v31, s[20:23], 0 offen lds               // 000000007160: E0511000 8005001F
	s_add_u32 m0, 0x600, s51                                   // 000000007168: 807C33FF 00000600
	v_mfma_i32_16x16x32_i8 v[136:139], a[126:127], v[222:223], v[136:139]// 000000007170: D3D70088 0E23BD7E
	v_mfma_i32_16x16x32_i8 v[140:143], a[112:113], v[224:225], v[140:143]// 000000007178: D3D7008C 0E33C170
	buffer_load_dwordx4 a[24:27], v35, s[24:27], 0 offen offset:2048// 000000007180: E05C1800 80861823
	v_mfma_i32_16x16x32_i8 v[140:143], a[114:115], v[226:227], v[140:143]// 000000007188: D3D7008C 0E33C572
	v_mfma_i32_16x16x32_i8 v[140:143], a[116:117], v[228:229], v[140:143]// 000000007190: D3D7008C 0E33C974
	buffer_load_dword v32, s[20:23], 0 offen lds               // 000000007198: E0511000 80050020
	s_add_u32 m0, 0x700, s51                                   // 0000000071A0: 807C33FF 00000700
	v_mfma_i32_16x16x32_i8 v[140:143], a[118:119], v[230:231], v[140:143]// 0000000071A8: D3D7008C 0E33CD76
	v_mfma_i32_16x16x32_i8 v[140:143], a[120:121], v[232:233], v[140:143]// 0000000071B0: D3D7008C 0E33D178
	buffer_load_dwordx4 a[28:31], v35, s[24:27], 0 offen offset:3072// 0000000071B8: E05C1C00 80861C23
	v_mfma_i32_16x16x32_i8 v[140:143], a[122:123], v[234:235], v[140:143]// 0000000071C0: D3D7008C 0E33D57A
	v_mfma_i32_16x16x32_i8 v[140:143], a[124:125], v[236:237], v[140:143]// 0000000071C8: D3D7008C 0E33D97C
	buffer_load_dword v33, s[20:23], 0 offen lds               // 0000000071D0: E0511000 80050021
	s_add_u32 m0, 0, s50                                       // 0000000071D8: 807C3280
	v_mfma_i32_16x16x32_i8 v[140:143], a[126:127], v[238:239], v[140:143]// 0000000071DC: D3D7008C 0E33DD7E
	s_waitcnt vmcnt(28)                                        // 0000000071E4: BF8C4F7C
	v_mfma_i32_16x16x32_i8 v[144:147], a[128:129], v[208:209], v[144:147]// 0000000071E8: D3D70090 0E43A180
	buffer_load_dwordx4 a[32:35], v36, s[24:27], 0 offen       // 0000000071F0: E05C1000 80862024
	v_mfma_i32_16x16x32_i8 v[144:147], a[130:131], v[210:211], v[144:147]// 0000000071F8: D3D70090 0E43A582
	v_mfma_i32_16x16x32_i8 v[144:147], a[132:133], v[212:213], v[144:147]// 000000007200: D3D70090 0E43A984
	ds_read_b128 v[176:179], v2                                // 000000007208: D9FE0000 B0000002
	v_mfma_i32_16x16x32_i8 v[144:147], a[134:135], v[214:215], v[144:147]// 000000007210: D3D70090 0E43AD86
	v_mfma_i32_16x16x32_i8 v[144:147], a[136:137], v[216:217], v[144:147]// 000000007218: D3D70090 0E43B188
	buffer_load_dwordx4 a[36:39], v36, s[24:27], 0 offen offset:1024// 000000007220: E05C1400 80862424
	v_mfma_i32_16x16x32_i8 v[144:147], a[138:139], v[218:219], v[144:147]// 000000007228: D3D70090 0E43B58A
	v_mfma_i32_16x16x32_i8 v[144:147], a[140:141], v[220:221], v[144:147]// 000000007230: D3D70090 0E43B98C
	ds_read_b128 v[180:183], v2 offset:64                      // 000000007238: D9FE0040 B4000002
	v_mfma_i32_16x16x32_i8 v[144:147], a[142:143], v[222:223], v[144:147]// 000000007240: D3D70090 0E43BD8E
	v_mfma_i32_16x16x32_i8 v[148:151], a[128:129], v[224:225], v[148:151]// 000000007248: D3D70094 0E53C180
	buffer_load_dwordx4 a[40:43], v36, s[24:27], 0 offen offset:2048// 000000007250: E05C1800 80862824
	v_mfma_i32_16x16x32_i8 v[148:151], a[130:131], v[226:227], v[148:151]// 000000007258: D3D70094 0E53C582
	v_mfma_i32_16x16x32_i8 v[148:151], a[132:133], v[228:229], v[148:151]// 000000007260: D3D70094 0E53C984
	ds_read_b128 v[184:187], v2 offset:128                     // 000000007268: D9FE0080 B8000002
	v_mfma_i32_16x16x32_i8 v[148:151], a[134:135], v[230:231], v[148:151]// 000000007270: D3D70094 0E53CD86
	v_mfma_i32_16x16x32_i8 v[148:151], a[136:137], v[232:233], v[148:151]// 000000007278: D3D70094 0E53D188
	buffer_load_dwordx4 a[44:47], v36, s[24:27], 0 offen offset:3072// 000000007280: E05C1C00 80862C24
	v_mfma_i32_16x16x32_i8 v[148:151], a[138:139], v[234:235], v[148:151]// 000000007288: D3D70094 0E53D58A
	v_mfma_i32_16x16x32_i8 v[148:151], a[140:141], v[236:237], v[148:151]// 000000007290: D3D70094 0E53D98C
	ds_read_b128 v[188:191], v2 offset:192                     // 000000007298: D9FE00C0 BC000002
	v_mfma_i32_16x16x32_i8 v[148:151], a[142:143], v[238:239], v[148:151]// 0000000072A0: D3D70094 0E53DD8E
	s_waitcnt vmcnt(28)                                        // 0000000072A8: BF8C4F7C
	v_mfma_i32_16x16x32_i8 v[152:155], a[144:145], v[208:209], v[152:155]// 0000000072AC: D3D70098 0E63A190
	buffer_load_dwordx4 a[48:51], v37, s[24:27], 0 offen       // 0000000072B4: E05C1000 80863025
	v_mfma_i32_16x16x32_i8 v[152:155], a[146:147], v[210:211], v[152:155]// 0000000072BC: D3D70098 0E63A592
	v_mfma_i32_16x16x32_i8 v[152:155], a[148:149], v[212:213], v[152:155]// 0000000072C4: D3D70098 0E63A994
	ds_read_b128 v[192:195], v2 offset:1024                    // 0000000072CC: D9FE0400 C0000002
	v_mfma_i32_16x16x32_i8 v[152:155], a[150:151], v[214:215], v[152:155]// 0000000072D4: D3D70098 0E63AD96
	v_mfma_i32_16x16x32_i8 v[152:155], a[152:153], v[216:217], v[152:155]// 0000000072DC: D3D70098 0E63B198
	buffer_load_dwordx4 a[52:55], v37, s[24:27], 0 offen offset:1024// 0000000072E4: E05C1400 80863425
	v_mfma_i32_16x16x32_i8 v[152:155], a[154:155], v[218:219], v[152:155]// 0000000072EC: D3D70098 0E63B59A
	v_mfma_i32_16x16x32_i8 v[152:155], a[156:157], v[220:221], v[152:155]// 0000000072F4: D3D70098 0E63B99C
	ds_read_b128 v[196:199], v2 offset:1088                    // 0000000072FC: D9FE0440 C4000002
	v_mfma_i32_16x16x32_i8 v[152:155], a[158:159], v[222:223], v[152:155]// 000000007304: D3D70098 0E63BD9E
	v_mfma_i32_16x16x32_i8 v[156:159], a[144:145], v[224:225], v[156:159]// 00000000730C: D3D7009C 0E73C190
	buffer_load_dwordx4 a[56:59], v37, s[24:27], 0 offen offset:2048// 000000007314: E05C1800 80863825
	v_mfma_i32_16x16x32_i8 v[156:159], a[146:147], v[226:227], v[156:159]// 00000000731C: D3D7009C 0E73C592
	v_mfma_i32_16x16x32_i8 v[156:159], a[148:149], v[228:229], v[156:159]// 000000007324: D3D7009C 0E73C994
	ds_read_b128 v[200:203], v2 offset:1152                    // 00000000732C: D9FE0480 C8000002
	v_mfma_i32_16x16x32_i8 v[156:159], a[150:151], v[230:231], v[156:159]// 000000007334: D3D7009C 0E73CD96
	v_mfma_i32_16x16x32_i8 v[156:159], a[152:153], v[232:233], v[156:159]// 00000000733C: D3D7009C 0E73D198
	buffer_load_dwordx4 a[60:63], v37, s[24:27], 0 offen offset:3072// 000000007344: E05C1C00 80863C25
	v_mfma_i32_16x16x32_i8 v[156:159], a[154:155], v[234:235], v[156:159]// 00000000734C: D3D7009C 0E73D59A
	v_mfma_i32_16x16x32_i8 v[156:159], a[156:157], v[236:237], v[156:159]// 000000007354: D3D7009C 0E73D99C
	ds_read_b128 v[204:207], v2 offset:1216                    // 00000000735C: D9FE04C0 CC000002
	v_mfma_i32_16x16x32_i8 v[156:159], a[158:159], v[238:239], v[156:159]// 000000007364: D3D7009C 0E73DD9E
	s_waitcnt vmcnt(28)                                        // 00000000736C: BF8C4F7C
	v_mfma_i32_16x16x32_i8 v[160:163], a[160:161], v[208:209], v[160:163]// 000000007370: D3D700A0 0E83A1A0
	buffer_load_dwordx4 a[64:67], v38, s[24:27], 0 offen       // 000000007378: E05C1000 80864026
	v_mfma_i32_16x16x32_i8 v[160:163], a[162:163], v[210:211], v[160:163]// 000000007380: D3D700A0 0E83A5A2
	v_mfma_i32_16x16x32_i8 v[160:163], a[164:165], v[212:213], v[160:163]// 000000007388: D3D700A0 0E83A9A4
	v_mfma_i32_16x16x32_i8 v[160:163], a[166:167], v[214:215], v[160:163]// 000000007390: D3D700A0 0E83ADA6
	v_mfma_i32_16x16x32_i8 v[160:163], a[168:169], v[216:217], v[160:163]// 000000007398: D3D700A0 0E83B1A8
	buffer_load_dwordx4 a[68:71], v38, s[24:27], 0 offen offset:1024// 0000000073A0: E05C1400 80864426
	v_mfma_i32_16x16x32_i8 v[160:163], a[170:171], v[218:219], v[160:163]// 0000000073A8: D3D700A0 0E83B5AA
	v_mfma_i32_16x16x32_i8 v[160:163], a[172:173], v[220:221], v[160:163]// 0000000073B0: D3D700A0 0E83B9AC
	v_mfma_i32_16x16x32_i8 v[160:163], a[174:175], v[222:223], v[160:163]// 0000000073B8: D3D700A0 0E83BDAE
	v_mfma_i32_16x16x32_i8 v[164:167], a[160:161], v[224:225], v[164:167]// 0000000073C0: D3D700A4 0E93C1A0
	buffer_load_dwordx4 a[72:75], v38, s[24:27], 0 offen offset:2048// 0000000073C8: E05C1800 80864826
	v_mfma_i32_16x16x32_i8 v[164:167], a[162:163], v[226:227], v[164:167]// 0000000073D0: D3D700A4 0E93C5A2
	v_mfma_i32_16x16x32_i8 v[164:167], a[164:165], v[228:229], v[164:167]// 0000000073D8: D3D700A4 0E93C9A4
	v_mfma_i32_16x16x32_i8 v[164:167], a[166:167], v[230:231], v[164:167]// 0000000073E0: D3D700A4 0E93CDA6
	v_mfma_i32_16x16x32_i8 v[164:167], a[168:169], v[232:233], v[164:167]// 0000000073E8: D3D700A4 0E93D1A8
	buffer_load_dwordx4 a[76:79], v38, s[24:27], 0 offen offset:3072// 0000000073F0: E05C1C00 80864C26
	v_mfma_i32_16x16x32_i8 v[164:167], a[170:171], v[234:235], v[164:167]// 0000000073F8: D3D700A4 0E93D5AA
	v_mfma_i32_16x16x32_i8 v[164:167], a[172:173], v[236:237], v[164:167]// 000000007400: D3D700A4 0E93D9AC
	v_mfma_i32_16x16x32_i8 v[164:167], a[174:175], v[238:239], v[164:167]// 000000007408: D3D700A4 0E93DDAE
	s_waitcnt vmcnt(28)                                        // 000000007410: BF8C4F7C
	v_mfma_i32_16x16x32_i8 v[168:171], a[176:177], v[208:209], v[168:171]// 000000007414: D3D700A8 0EA3A1B0
	buffer_load_dwordx4 a[80:83], v39, s[24:27], 0 offen       // 00000000741C: E05C1000 80865027
	v_mfma_i32_16x16x32_i8 v[168:171], a[178:179], v[210:211], v[168:171]// 000000007424: D3D700A8 0EA3A5B2
	v_mfma_i32_16x16x32_i8 v[168:171], a[180:181], v[212:213], v[168:171]// 00000000742C: D3D700A8 0EA3A9B4
	v_mfma_i32_16x16x32_i8 v[168:171], a[182:183], v[214:215], v[168:171]// 000000007434: D3D700A8 0EA3ADB6
	v_mfma_i32_16x16x32_i8 v[168:171], a[184:185], v[216:217], v[168:171]// 00000000743C: D3D700A8 0EA3B1B8
	buffer_load_dwordx4 a[84:87], v39, s[24:27], 0 offen offset:1024// 000000007444: E05C1400 80865427
	v_mfma_i32_16x16x32_i8 v[168:171], a[186:187], v[218:219], v[168:171]// 00000000744C: D3D700A8 0EA3B5BA
	v_mfma_i32_16x16x32_i8 v[168:171], a[188:189], v[220:221], v[168:171]// 000000007454: D3D700A8 0EA3B9BC
	v_mfma_i32_16x16x32_i8 v[168:171], a[190:191], v[222:223], v[168:171]// 00000000745C: D3D700A8 0EA3BDBE
	v_mfma_i32_16x16x32_i8 v[172:175], a[176:177], v[224:225], v[172:175]// 000000007464: D3D700AC 0EB3C1B0
	buffer_load_dwordx4 a[88:91], v39, s[24:27], 0 offen offset:2048// 00000000746C: E05C1800 80865827
	v_mfma_i32_16x16x32_i8 v[172:175], a[178:179], v[226:227], v[172:175]// 000000007474: D3D700AC 0EB3C5B2
	v_mfma_i32_16x16x32_i8 v[172:175], a[180:181], v[228:229], v[172:175]// 00000000747C: D3D700AC 0EB3C9B4
	v_mfma_i32_16x16x32_i8 v[172:175], a[182:183], v[230:231], v[172:175]// 000000007484: D3D700AC 0EB3CDB6
	v_mfma_i32_16x16x32_i8 v[172:175], a[184:185], v[232:233], v[172:175]// 00000000748C: D3D700AC 0EB3D1B8
	buffer_load_dwordx4 a[92:95], v39, s[24:27], 0 offen offset:3072// 000000007494: E05C1C00 80865C27
	v_mfma_i32_16x16x32_i8 v[172:175], a[186:187], v[234:235], v[172:175]// 00000000749C: D3D700AC 0EB3D5BA
	v_mfma_i32_16x16x32_i8 v[172:175], a[188:189], v[236:237], v[172:175]// 0000000074A4: D3D700AC 0EB3D9BC
	v_mfma_i32_16x16x32_i8 v[172:175], a[190:191], v[238:239], v[172:175]// 0000000074AC: D3D700AC 0EB3DDBE
	s_add_u32 s60, 0x300, s80                                  // 0000000074B4: 803C50FF 00000300
	s_cmp_lt_u32 s60, s81                                      // 0000000074BC: BF0A513C
	s_cselect_b32 s57, s57, 0                                  // 0000000074C0: 85398039
	s_add_u32 s60, 0x200, s80                                  // 0000000074C4: 803C50FF 00000200
	s_cmp_lt_u32 s60, s81                                      // 0000000074CC: BF0A513C
	s_cselect_b32 s58, s58, 0                                  // 0000000074D0: 853A803A
	s_add_u32 s20, s57, s20                                    // 0000000074D4: 80141439
	s_addc_u32 s21, 0, s21                                     // 0000000074D8: 82151580
	s_add_u32 s24, s58, s24                                    // 0000000074DC: 8018183A
	s_addc_u32 s25, 0, s25                                     // 0000000074E0: 82191980
	s_addk_i32 s80, 0x100                                      // 0000000074E4: B7500100
	s_cmp_lt_i32 s80, s81                                      // 0000000074E8: BF045150
	s_cbranch_scc0 label_127D                                  // 0000000074EC: BF840001
	s_branch label_1014                                        // 0000000074F0: BF82FD97

00000000000074f4 <label_127D>:
	s_mov_b32 s36, -1                                          // 0000000074F4: BEA400C1
	s_mov_b32 s37, -1                                          // 0000000074F8: BEA500C1
	s_mov_b64 s[60:61], 0                                      // 0000000074FC: BEBC0180
	s_cmp_lt_u32 s82, s66                                      // 000000007500: BF0A4252
	s_cselect_b64 s[20:21], s[36:37], s[60:61]                 // 000000007504: 85943C24
	s_cmp_lt_u32 s83, s66                                      // 000000007508: BF0A4253
	s_cselect_b64 s[22:23], s[36:37], s[60:61]                 // 00000000750C: 85963C24
	s_cmp_lt_u32 s84, s66                                      // 000000007510: BF0A4254
	s_cselect_b64 s[24:25], s[36:37], s[60:61]                 // 000000007514: 85983C24
	s_cmp_lt_u32 s85, s66                                      // 000000007518: BF0A4255
	s_cselect_b64 s[26:27], s[36:37], s[60:61]                 // 00000000751C: 859A3C24
	s_cmp_lt_u32 s86, s66                                      // 000000007520: BF0A4256
	s_cselect_b64 s[28:29], s[36:37], s[60:61]                 // 000000007524: 859C3C24
	s_cmp_lt_u32 s87, s66                                      // 000000007528: BF0A4257
	s_cselect_b64 s[30:31], s[36:37], s[60:61]                 // 00000000752C: 859E3C24
	s_cmp_lt_u32 s88, s66                                      // 000000007530: BF0A4258
	s_cselect_b64 s[32:33], s[36:37], s[60:61]                 // 000000007534: 85A03C24
	s_cmp_lt_u32 s89, s66                                      // 000000007538: BF0A4259
	s_cselect_b64 s[34:35], s[36:37], s[60:61]                 // 00000000753C: 85A23C24
	v_cvt_f32_i32_e32 v128, v128                               // 000000007540: 7F000B80
	v_cvt_f32_i32_e32 v129, v129                               // 000000007544: 7F020B81
	v_cvt_f32_i32_e32 v130, v130                               // 000000007548: 7F040B82
	v_cvt_f32_i32_e32 v131, v131                               // 00000000754C: 7F060B83
	v_mul_f32_e32 v128, v14, v128                              // 000000007550: 0B01010E
	v_mul_f32_e32 v129, v14, v129                              // 000000007554: 0B03030E
	v_mul_f32_e32 v130, v14, v130                              // 000000007558: 0B05050E
	v_mul_f32_e32 v131, v14, v131                              // 00000000755C: 0B07070E
	v_mul_f32_dpp v128, v16, v128 row_newbcast:0 row_mask:0xf bank_mask:0xf// 000000007560: 0B0100FA FF015010
	v_mul_f32_dpp v129, v16, v129 row_newbcast:1 row_mask:0xf bank_mask:0xf// 000000007568: 0B0302FA FF015110
	v_mul_f32_dpp v130, v16, v130 row_newbcast:2 row_mask:0xf bank_mask:0xf// 000000007570: 0B0504FA FF015210
	v_mul_f32_dpp v131, v16, v131 row_newbcast:3 row_mask:0xf bank_mask:0xf// 000000007578: 0B0706FA FF015310
	v_cvt_f32_i32_e32 v132, v132                               // 000000007580: 7F080B84
	v_cvt_f32_i32_e32 v133, v133                               // 000000007584: 7F0A0B85
	v_cvt_f32_i32_e32 v134, v134                               // 000000007588: 7F0C0B86
	v_cvt_f32_i32_e32 v135, v135                               // 00000000758C: 7F0E0B87
	v_mul_f32_e32 v132, v15, v132                              // 000000007590: 0B09090F
	v_mul_f32_e32 v133, v15, v133                              // 000000007594: 0B0B0B0F
	v_mul_f32_e32 v134, v15, v134                              // 000000007598: 0B0D0D0F
	v_mul_f32_e32 v135, v15, v135                              // 00000000759C: 0B0F0F0F
	v_mul_f32_dpp v132, v16, v132 row_newbcast:0 row_mask:0xf bank_mask:0xf// 0000000075A0: 0B0908FA FF015010
	v_mul_f32_dpp v133, v16, v133 row_newbcast:1 row_mask:0xf bank_mask:0xf// 0000000075A8: 0B0B0AFA FF015110
	v_mul_f32_dpp v134, v16, v134 row_newbcast:2 row_mask:0xf bank_mask:0xf// 0000000075B0: 0B0D0CFA FF015210
	v_mul_f32_dpp v135, v16, v135 row_newbcast:3 row_mask:0xf bank_mask:0xf// 0000000075B8: 0B0F0EFA FF015310
	v_cvt_f32_i32_e32 v136, v136                               // 0000000075C0: 7F100B88
	v_cvt_f32_i32_e32 v137, v137                               // 0000000075C4: 7F120B89
	v_cvt_f32_i32_e32 v138, v138                               // 0000000075C8: 7F140B8A
	v_cvt_f32_i32_e32 v139, v139                               // 0000000075CC: 7F160B8B
	v_mul_f32_e32 v136, v14, v136                              // 0000000075D0: 0B11110E
	v_mul_f32_e32 v137, v14, v137                              // 0000000075D4: 0B13130E
	v_mul_f32_e32 v138, v14, v138                              // 0000000075D8: 0B15150E
	v_mul_f32_e32 v139, v14, v139                              // 0000000075DC: 0B17170E
	v_mul_f32_dpp v136, v16, v136 row_newbcast:4 row_mask:0xf bank_mask:0xf// 0000000075E0: 0B1110FA FF015410
	v_mul_f32_dpp v137, v16, v137 row_newbcast:5 row_mask:0xf bank_mask:0xf// 0000000075E8: 0B1312FA FF015510
	v_mul_f32_dpp v138, v16, v138 row_newbcast:6 row_mask:0xf bank_mask:0xf// 0000000075F0: 0B1514FA FF015610
	v_mul_f32_dpp v139, v16, v139 row_newbcast:7 row_mask:0xf bank_mask:0xf// 0000000075F8: 0B1716FA FF015710
	v_cvt_f32_i32_e32 v140, v140                               // 000000007600: 7F180B8C
	v_cvt_f32_i32_e32 v141, v141                               // 000000007604: 7F1A0B8D
	v_cvt_f32_i32_e32 v142, v142                               // 000000007608: 7F1C0B8E
	v_cvt_f32_i32_e32 v143, v143                               // 00000000760C: 7F1E0B8F
	v_mul_f32_e32 v140, v15, v140                              // 000000007610: 0B19190F
	v_mul_f32_e32 v141, v15, v141                              // 000000007614: 0B1B1B0F
	v_mul_f32_e32 v142, v15, v142                              // 000000007618: 0B1D1D0F
	v_mul_f32_e32 v143, v15, v143                              // 00000000761C: 0B1F1F0F
	v_mul_f32_dpp v140, v16, v140 row_newbcast:4 row_mask:0xf bank_mask:0xf// 000000007620: 0B1918FA FF015410
	v_mul_f32_dpp v141, v16, v141 row_newbcast:5 row_mask:0xf bank_mask:0xf// 000000007628: 0B1B1AFA FF015510
	v_mul_f32_dpp v142, v16, v142 row_newbcast:6 row_mask:0xf bank_mask:0xf// 000000007630: 0B1D1CFA FF015610
	v_mul_f32_dpp v143, v16, v143 row_newbcast:7 row_mask:0xf bank_mask:0xf// 000000007638: 0B1F1EFA FF015710
	v_cvt_f32_i32_e32 v144, v144                               // 000000007640: 7F200B90
	v_cvt_f32_i32_e32 v145, v145                               // 000000007644: 7F220B91
	v_cvt_f32_i32_e32 v146, v146                               // 000000007648: 7F240B92
	v_cvt_f32_i32_e32 v147, v147                               // 00000000764C: 7F260B93
	v_mul_f32_e32 v144, v14, v144                              // 000000007650: 0B21210E
	v_mul_f32_e32 v145, v14, v145                              // 000000007654: 0B23230E
	v_mul_f32_e32 v146, v14, v146                              // 000000007658: 0B25250E
	v_mul_f32_e32 v147, v14, v147                              // 00000000765C: 0B27270E
	v_mul_f32_dpp v144, v16, v144 row_newbcast:8 row_mask:0xf bank_mask:0xf// 000000007660: 0B2120FA FF015810
	v_mul_f32_dpp v145, v16, v145 row_newbcast:9 row_mask:0xf bank_mask:0xf// 000000007668: 0B2322FA FF015910
	v_mul_f32_dpp v146, v16, v146 row_newbcast:10 row_mask:0xf bank_mask:0xf// 000000007670: 0B2524FA FF015A10
	v_mul_f32_dpp v147, v16, v147 row_newbcast:11 row_mask:0xf bank_mask:0xf// 000000007678: 0B2726FA FF015B10
	v_cvt_f32_i32_e32 v148, v148                               // 000000007680: 7F280B94
	v_cvt_f32_i32_e32 v149, v149                               // 000000007684: 7F2A0B95
	v_cvt_f32_i32_e32 v150, v150                               // 000000007688: 7F2C0B96
	v_cvt_f32_i32_e32 v151, v151                               // 00000000768C: 7F2E0B97
	v_mul_f32_e32 v148, v15, v148                              // 000000007690: 0B29290F
	v_mul_f32_e32 v149, v15, v149                              // 000000007694: 0B2B2B0F
	v_mul_f32_e32 v150, v15, v150                              // 000000007698: 0B2D2D0F
	v_mul_f32_e32 v151, v15, v151                              // 00000000769C: 0B2F2F0F
	v_mul_f32_dpp v148, v16, v148 row_newbcast:8 row_mask:0xf bank_mask:0xf// 0000000076A0: 0B2928FA FF015810
	v_mul_f32_dpp v149, v16, v149 row_newbcast:9 row_mask:0xf bank_mask:0xf// 0000000076A8: 0B2B2AFA FF015910
	v_mul_f32_dpp v150, v16, v150 row_newbcast:10 row_mask:0xf bank_mask:0xf// 0000000076B0: 0B2D2CFA FF015A10
	v_mul_f32_dpp v151, v16, v151 row_newbcast:11 row_mask:0xf bank_mask:0xf// 0000000076B8: 0B2F2EFA FF015B10
	v_cvt_f32_i32_e32 v152, v152                               // 0000000076C0: 7F300B98
	v_cvt_f32_i32_e32 v153, v153                               // 0000000076C4: 7F320B99
	v_cvt_f32_i32_e32 v154, v154                               // 0000000076C8: 7F340B9A
	v_cvt_f32_i32_e32 v155, v155                               // 0000000076CC: 7F360B9B
	v_mul_f32_e32 v152, v14, v152                              // 0000000076D0: 0B31310E
	v_mul_f32_e32 v153, v14, v153                              // 0000000076D4: 0B33330E
	v_mul_f32_e32 v154, v14, v154                              // 0000000076D8: 0B35350E
	v_mul_f32_e32 v155, v14, v155                              // 0000000076DC: 0B37370E
	v_mul_f32_dpp v152, v16, v152 row_newbcast:12 row_mask:0xf bank_mask:0xf// 0000000076E0: 0B3130FA FF015C10
	v_mul_f32_dpp v153, v16, v153 row_newbcast:13 row_mask:0xf bank_mask:0xf// 0000000076E8: 0B3332FA FF015D10
	v_mul_f32_dpp v154, v16, v154 row_newbcast:14 row_mask:0xf bank_mask:0xf// 0000000076F0: 0B3534FA FF015E10
	v_mul_f32_dpp v155, v16, v155 row_newbcast:15 row_mask:0xf bank_mask:0xf// 0000000076F8: 0B3736FA FF015F10
	v_cvt_f32_i32_e32 v156, v156                               // 000000007700: 7F380B9C
	v_cvt_f32_i32_e32 v157, v157                               // 000000007704: 7F3A0B9D
	v_cvt_f32_i32_e32 v158, v158                               // 000000007708: 7F3C0B9E
	v_cvt_f32_i32_e32 v159, v159                               // 00000000770C: 7F3E0B9F
	v_mul_f32_e32 v156, v15, v156                              // 000000007710: 0B39390F
	v_mul_f32_e32 v157, v15, v157                              // 000000007714: 0B3B3B0F
	v_mul_f32_e32 v158, v15, v158                              // 000000007718: 0B3D3D0F
	v_mul_f32_e32 v159, v15, v159                              // 00000000771C: 0B3F3F0F
	v_mul_f32_dpp v156, v16, v156 row_newbcast:12 row_mask:0xf bank_mask:0xf// 000000007720: 0B3938FA FF015C10
	v_mul_f32_dpp v157, v16, v157 row_newbcast:13 row_mask:0xf bank_mask:0xf// 000000007728: 0B3B3AFA FF015D10
	v_mul_f32_dpp v158, v16, v158 row_newbcast:14 row_mask:0xf bank_mask:0xf// 000000007730: 0B3D3CFA FF015E10
	v_mul_f32_dpp v159, v16, v159 row_newbcast:15 row_mask:0xf bank_mask:0xf// 000000007738: 0B3F3EFA FF015F10
	v_cvt_f32_i32_e32 v160, v160                               // 000000007740: 7F400BA0
	v_cvt_f32_i32_e32 v161, v161                               // 000000007744: 7F420BA1
	v_cvt_f32_i32_e32 v162, v162                               // 000000007748: 7F440BA2
	v_cvt_f32_i32_e32 v163, v163                               // 00000000774C: 7F460BA3
	v_mul_f32_e32 v160, v14, v160                              // 000000007750: 0B41410E
	v_mul_f32_e32 v161, v14, v161                              // 000000007754: 0B43430E
	v_mul_f32_e32 v162, v14, v162                              // 000000007758: 0B45450E
	v_mul_f32_e32 v163, v14, v163                              // 00000000775C: 0B47470E
	v_mul_f32_dpp v160, v17, v160 row_newbcast:0 row_mask:0xf bank_mask:0xf// 000000007760: 0B4140FA FF015011
	v_mul_f32_dpp v161, v17, v161 row_newbcast:1 row_mask:0xf bank_mask:0xf// 000000007768: 0B4342FA FF015111
	v_mul_f32_dpp v162, v17, v162 row_newbcast:2 row_mask:0xf bank_mask:0xf// 000000007770: 0B4544FA FF015211
	v_mul_f32_dpp v163, v17, v163 row_newbcast:3 row_mask:0xf bank_mask:0xf// 000000007778: 0B4746FA FF015311
	v_cvt_f32_i32_e32 v164, v164                               // 000000007780: 7F480BA4
	v_cvt_f32_i32_e32 v165, v165                               // 000000007784: 7F4A0BA5
	v_cvt_f32_i32_e32 v166, v166                               // 000000007788: 7F4C0BA6
	v_cvt_f32_i32_e32 v167, v167                               // 00000000778C: 7F4E0BA7
	v_mul_f32_e32 v164, v15, v164                              // 000000007790: 0B49490F
	v_mul_f32_e32 v165, v15, v165                              // 000000007794: 0B4B4B0F
	v_mul_f32_e32 v166, v15, v166                              // 000000007798: 0B4D4D0F
	v_mul_f32_e32 v167, v15, v167                              // 00000000779C: 0B4F4F0F
	v_mul_f32_dpp v164, v17, v164 row_newbcast:0 row_mask:0xf bank_mask:0xf// 0000000077A0: 0B4948FA FF015011
	v_mul_f32_dpp v165, v17, v165 row_newbcast:1 row_mask:0xf bank_mask:0xf// 0000000077A8: 0B4B4AFA FF015111
	v_mul_f32_dpp v166, v17, v166 row_newbcast:2 row_mask:0xf bank_mask:0xf// 0000000077B0: 0B4D4CFA FF015211
	v_mul_f32_dpp v167, v17, v167 row_newbcast:3 row_mask:0xf bank_mask:0xf// 0000000077B8: 0B4F4EFA FF015311
	v_cvt_f32_i32_e32 v168, v168                               // 0000000077C0: 7F500BA8
	v_cvt_f32_i32_e32 v169, v169                               // 0000000077C4: 7F520BA9
	v_cvt_f32_i32_e32 v170, v170                               // 0000000077C8: 7F540BAA
	v_cvt_f32_i32_e32 v171, v171                               // 0000000077CC: 7F560BAB
	v_mul_f32_e32 v168, v14, v168                              // 0000000077D0: 0B51510E
	v_mul_f32_e32 v169, v14, v169                              // 0000000077D4: 0B53530E
	v_mul_f32_e32 v170, v14, v170                              // 0000000077D8: 0B55550E
	v_mul_f32_e32 v171, v14, v171                              // 0000000077DC: 0B57570E
	v_mul_f32_dpp v168, v17, v168 row_newbcast:4 row_mask:0xf bank_mask:0xf// 0000000077E0: 0B5150FA FF015411
	v_mul_f32_dpp v169, v17, v169 row_newbcast:5 row_mask:0xf bank_mask:0xf// 0000000077E8: 0B5352FA FF015511
	v_mul_f32_dpp v170, v17, v170 row_newbcast:6 row_mask:0xf bank_mask:0xf// 0000000077F0: 0B5554FA FF015611
	v_mul_f32_dpp v171, v17, v171 row_newbcast:7 row_mask:0xf bank_mask:0xf// 0000000077F8: 0B5756FA FF015711
	v_cvt_f32_i32_e32 v172, v172                               // 000000007800: 7F580BAC
	v_cvt_f32_i32_e32 v173, v173                               // 000000007804: 7F5A0BAD
	v_cvt_f32_i32_e32 v174, v174                               // 000000007808: 7F5C0BAE
	v_cvt_f32_i32_e32 v175, v175                               // 00000000780C: 7F5E0BAF
	v_mul_f32_e32 v172, v15, v172                              // 000000007810: 0B59590F
	v_mul_f32_e32 v173, v15, v173                              // 000000007814: 0B5B5B0F
	v_mul_f32_e32 v174, v15, v174                              // 000000007818: 0B5D5D0F
	v_mul_f32_e32 v175, v15, v175                              // 00000000781C: 0B5F5F0F
	v_mul_f32_dpp v172, v17, v172 row_newbcast:4 row_mask:0xf bank_mask:0xf// 000000007820: 0B5958FA FF015411
	v_mul_f32_dpp v173, v17, v173 row_newbcast:5 row_mask:0xf bank_mask:0xf// 000000007828: 0B5B5AFA FF015511
	v_mul_f32_dpp v174, v17, v174 row_newbcast:6 row_mask:0xf bank_mask:0xf// 000000007830: 0B5D5CFA FF015611
	v_mul_f32_dpp v175, v17, v175 row_newbcast:7 row_mask:0xf bank_mask:0xf// 000000007838: 0B5F5EFA FF015711
	s_waitcnt vmcnt(20)                                        // 000000007840: BF8C4F74
	buffer_load_dwordx4 a[0:3], v40, s[12:15], 0 offen         // 000000007844: E05C1000 80830028
	v_mul_f32_e32 v48, v128, v128                              // 00000000784C: 0A610180
	v_mul_f32_e32 v49, v129, v129                              // 000000007850: 0A630381
	v_mul_f32_e32 v50, v130, v130                              // 000000007854: 0A650582
	v_mul_f32_e32 v51, v131, v131                              // 000000007858: 0A670783
	v_fma_f32 v48, v48, s77, v1                                // 00000000785C: D1CB0030 04049B30
	v_fma_f32 v49, v49, s77, v1                                // 000000007864: D1CB0031 04049B31
	v_fma_f32 v50, v50, s77, v1                                // 00000000786C: D1CB0032 04049B32
	v_fma_f32 v51, v51, s77, v1                                // 000000007874: D1CB0033 04049B33
	v_mul_f32_e32 v48, v48, v128                               // 00000000787C: 0A610130
	v_mul_f32_e32 v49, v49, v129                               // 000000007880: 0A630331
	v_mul_f32_e32 v50, v50, v130                               // 000000007884: 0A650532
	v_mul_f32_e32 v51, v51, v131                               // 000000007888: 0A670733
	v_mul_f32_e64 v48, v48, s6                                 // 00000000788C: D1050030 00000D30
	v_mul_f32_e64 v49, v49, s6                                 // 000000007894: D1050031 00000D31
	v_mul_f32_e64 v50, v50, s6                                 // 00000000789C: D1050032 00000D32
	v_mul_f32_e64 v51, v51, s6                                 // 0000000078A4: D1050033 00000D33
	v_exp_f32_e32 v48, v48                                     // 0000000078AC: 7E604130
	v_exp_f32_e32 v49, v49                                     // 0000000078B0: 7E624131
	v_exp_f32_e32 v50, v50                                     // 0000000078B4: 7E644132
	v_exp_f32_e32 v51, v51                                     // 0000000078B8: 7E664133
	buffer_load_dwordx4 a[4:7], v41, s[12:15], 0 offen         // 0000000078BC: E05C1000 80830429
	v_add_f32_e64 v48, v48, 1.0                                // 0000000078C4: D1010030 0001E530
	v_add_f32_e64 v49, v49, 1.0                                // 0000000078CC: D1010031 0001E531
	v_add_f32_e64 v50, v50, 1.0                                // 0000000078D4: D1010032 0001E532
	v_add_f32_e64 v51, v51, 1.0                                // 0000000078DC: D1010033 0001E533
	v_rcp_f32_e32 v48, v48                                     // 0000000078E4: 7E604530
	v_rcp_f32_e32 v49, v49                                     // 0000000078E8: 7E624531
	v_rcp_f32_e32 v50, v50                                     // 0000000078EC: 7E644532
	v_rcp_f32_e32 v51, v51                                     // 0000000078F0: 7E664533
	v_mul_f32_e32 v128, v128, v48                              // 0000000078F4: 0B006180
	v_mul_f32_e32 v129, v129, v49                              // 0000000078F8: 0B026381
	v_mul_f32_e32 v130, v130, v50                              // 0000000078FC: 0B046582
	v_mul_f32_e32 v131, v131, v51                              // 000000007900: 0B066783
	buffer_load_dwordx4 a[8:11], v42, s[12:15], 0 offen        // 000000007904: E05C1000 8083082A
	v_mul_f32_e32 v48, v132, v132                              // 00000000790C: 0A610984
	v_mul_f32_e32 v49, v133, v133                              // 000000007910: 0A630B85
	v_mul_f32_e32 v50, v134, v134                              // 000000007914: 0A650D86
	v_mul_f32_e32 v51, v135, v135                              // 000000007918: 0A670F87
	v_fma_f32 v48, v48, s77, v1                                // 00000000791C: D1CB0030 04049B30
	v_fma_f32 v49, v49, s77, v1                                // 000000007924: D1CB0031 04049B31
	v_fma_f32 v50, v50, s77, v1                                // 00000000792C: D1CB0032 04049B32
	v_fma_f32 v51, v51, s77, v1                                // 000000007934: D1CB0033 04049B33
	v_mul_f32_e32 v48, v48, v132                               // 00000000793C: 0A610930
	v_mul_f32_e32 v49, v49, v133                               // 000000007940: 0A630B31
	v_mul_f32_e32 v50, v50, v134                               // 000000007944: 0A650D32
	v_mul_f32_e32 v51, v51, v135                               // 000000007948: 0A670F33
	v_mul_f32_e64 v48, v48, s6                                 // 00000000794C: D1050030 00000D30
	v_mul_f32_e64 v49, v49, s6                                 // 000000007954: D1050031 00000D31
	v_mul_f32_e64 v50, v50, s6                                 // 00000000795C: D1050032 00000D32
	v_mul_f32_e64 v51, v51, s6                                 // 000000007964: D1050033 00000D33
	v_exp_f32_e32 v48, v48                                     // 00000000796C: 7E604130
	v_exp_f32_e32 v49, v49                                     // 000000007970: 7E624131
	v_exp_f32_e32 v50, v50                                     // 000000007974: 7E644132
	v_exp_f32_e32 v51, v51                                     // 000000007978: 7E664133
	buffer_load_dwordx4 a[12:15], v43, s[12:15], 0 offen       // 00000000797C: E05C1000 80830C2B
	s_add_u32 s12, s78, s12                                    // 000000007984: 800C0C4E
	s_addc_u32 s13, 0, s13                                     // 000000007988: 820D0D80
	v_add_f32_e64 v48, v48, 1.0                                // 00000000798C: D1010030 0001E530
	v_add_f32_e64 v49, v49, 1.0                                // 000000007994: D1010031 0001E531
	v_add_f32_e64 v50, v50, 1.0                                // 00000000799C: D1010032 0001E532
	v_add_f32_e64 v51, v51, 1.0                                // 0000000079A4: D1010033 0001E533
	v_rcp_f32_e32 v48, v48                                     // 0000000079AC: 7E604530
	v_rcp_f32_e32 v49, v49                                     // 0000000079B0: 7E624531
	v_rcp_f32_e32 v50, v50                                     // 0000000079B4: 7E644532
	v_rcp_f32_e32 v51, v51                                     // 0000000079B8: 7E664533
	v_mul_f32_e32 v132, v132, v48                              // 0000000079BC: 0B086184
	v_mul_f32_e32 v133, v133, v49                              // 0000000079C0: 0B0A6385
	v_mul_f32_e32 v134, v134, v50                              // 0000000079C4: 0B0C6586
	v_mul_f32_e32 v135, v135, v51                              // 0000000079C8: 0B0E6787
	s_waitcnt vmcnt(20)                                        // 0000000079CC: BF8C4F74
	buffer_load_dwordx4 a[16:19], v40, s[12:15], 0 offen       // 0000000079D0: E05C1000 80831028
	v_mul_f32_e32 v48, v136, v136                              // 0000000079D8: 0A611188
	v_mul_f32_e32 v49, v137, v137                              // 0000000079DC: 0A631389
	v_mul_f32_e32 v50, v138, v138                              // 0000000079E0: 0A65158A
	v_mul_f32_e32 v51, v139, v139                              // 0000000079E4: 0A67178B
	v_fma_f32 v48, v48, s77, v1                                // 0000000079E8: D1CB0030 04049B30
	v_fma_f32 v49, v49, s77, v1                                // 0000000079F0: D1CB0031 04049B31
	v_fma_f32 v50, v50, s77, v1                                // 0000000079F8: D1CB0032 04049B32
	v_fma_f32 v51, v51, s77, v1                                // 000000007A00: D1CB0033 04049B33
	v_mul_f32_e32 v48, v48, v136                               // 000000007A08: 0A611130
	v_mul_f32_e32 v49, v49, v137                               // 000000007A0C: 0A631331
	v_mul_f32_e32 v50, v50, v138                               // 000000007A10: 0A651532
	v_mul_f32_e32 v51, v51, v139                               // 000000007A14: 0A671733
	v_mul_f32_e64 v48, v48, s6                                 // 000000007A18: D1050030 00000D30
	v_mul_f32_e64 v49, v49, s6                                 // 000000007A20: D1050031 00000D31
	v_mul_f32_e64 v50, v50, s6                                 // 000000007A28: D1050032 00000D32
	v_mul_f32_e64 v51, v51, s6                                 // 000000007A30: D1050033 00000D33
	v_exp_f32_e32 v48, v48                                     // 000000007A38: 7E604130
	v_exp_f32_e32 v49, v49                                     // 000000007A3C: 7E624131
	v_exp_f32_e32 v50, v50                                     // 000000007A40: 7E644132
	v_exp_f32_e32 v51, v51                                     // 000000007A44: 7E664133
	buffer_load_dwordx4 a[20:23], v41, s[12:15], 0 offen       // 000000007A48: E05C1000 80831429
	v_add_f32_e64 v48, v48, 1.0                                // 000000007A50: D1010030 0001E530
	v_add_f32_e64 v49, v49, 1.0                                // 000000007A58: D1010031 0001E531
	v_add_f32_e64 v50, v50, 1.0                                // 000000007A60: D1010032 0001E532
	v_add_f32_e64 v51, v51, 1.0                                // 000000007A68: D1010033 0001E533
	v_rcp_f32_e32 v48, v48                                     // 000000007A70: 7E604530
	v_rcp_f32_e32 v49, v49                                     // 000000007A74: 7E624531
	v_rcp_f32_e32 v50, v50                                     // 000000007A78: 7E644532
	v_rcp_f32_e32 v51, v51                                     // 000000007A7C: 7E664533
	v_mul_f32_e32 v136, v136, v48                              // 000000007A80: 0B106188
	v_mul_f32_e32 v137, v137, v49                              // 000000007A84: 0B126389
	v_mul_f32_e32 v138, v138, v50                              // 000000007A88: 0B14658A
	v_mul_f32_e32 v139, v139, v51                              // 000000007A8C: 0B16678B
	buffer_load_dwordx4 a[24:27], v42, s[12:15], 0 offen       // 000000007A90: E05C1000 8083182A
	v_mul_f32_e32 v48, v140, v140                              // 000000007A98: 0A61198C
	v_mul_f32_e32 v49, v141, v141                              // 000000007A9C: 0A631B8D
	v_mul_f32_e32 v50, v142, v142                              // 000000007AA0: 0A651D8E
	v_mul_f32_e32 v51, v143, v143                              // 000000007AA4: 0A671F8F
	v_fma_f32 v48, v48, s77, v1                                // 000000007AA8: D1CB0030 04049B30
	v_fma_f32 v49, v49, s77, v1                                // 000000007AB0: D1CB0031 04049B31
	v_fma_f32 v50, v50, s77, v1                                // 000000007AB8: D1CB0032 04049B32
	v_fma_f32 v51, v51, s77, v1                                // 000000007AC0: D1CB0033 04049B33
	v_mul_f32_e32 v48, v48, v140                               // 000000007AC8: 0A611930
	v_mul_f32_e32 v49, v49, v141                               // 000000007ACC: 0A631B31
	v_mul_f32_e32 v50, v50, v142                               // 000000007AD0: 0A651D32
	v_mul_f32_e32 v51, v51, v143                               // 000000007AD4: 0A671F33
	v_mul_f32_e64 v48, v48, s6                                 // 000000007AD8: D1050030 00000D30
	v_mul_f32_e64 v49, v49, s6                                 // 000000007AE0: D1050031 00000D31
	v_mul_f32_e64 v50, v50, s6                                 // 000000007AE8: D1050032 00000D32
	v_mul_f32_e64 v51, v51, s6                                 // 000000007AF0: D1050033 00000D33
	v_exp_f32_e32 v48, v48                                     // 000000007AF8: 7E604130
	v_exp_f32_e32 v49, v49                                     // 000000007AFC: 7E624131
	v_exp_f32_e32 v50, v50                                     // 000000007B00: 7E644132
	v_exp_f32_e32 v51, v51                                     // 000000007B04: 7E664133
	buffer_load_dwordx4 a[28:31], v43, s[12:15], 0 offen       // 000000007B08: E05C1000 80831C2B
	s_add_u32 s12, s78, s12                                    // 000000007B10: 800C0C4E
	s_addc_u32 s13, 0, s13                                     // 000000007B14: 820D0D80
	v_add_f32_e64 v48, v48, 1.0                                // 000000007B18: D1010030 0001E530
	v_add_f32_e64 v49, v49, 1.0                                // 000000007B20: D1010031 0001E531
	v_add_f32_e64 v50, v50, 1.0                                // 000000007B28: D1010032 0001E532
	v_add_f32_e64 v51, v51, 1.0                                // 000000007B30: D1010033 0001E533
	v_rcp_f32_e32 v48, v48                                     // 000000007B38: 7E604530
	v_rcp_f32_e32 v49, v49                                     // 000000007B3C: 7E624531
	v_rcp_f32_e32 v50, v50                                     // 000000007B40: 7E644532
	v_rcp_f32_e32 v51, v51                                     // 000000007B44: 7E664533
	v_mul_f32_e32 v140, v140, v48                              // 000000007B48: 0B18618C
	v_mul_f32_e32 v141, v141, v49                              // 000000007B4C: 0B1A638D
	v_mul_f32_e32 v142, v142, v50                              // 000000007B50: 0B1C658E
	v_mul_f32_e32 v143, v143, v51                              // 000000007B54: 0B1E678F
	s_waitcnt vmcnt(20)                                        // 000000007B58: BF8C4F74
	buffer_load_dwordx4 a[32:35], v40, s[12:15], 0 offen       // 000000007B5C: E05C1000 80832028
	v_mul_f32_e32 v48, v144, v144                              // 000000007B64: 0A612190
	v_mul_f32_e32 v49, v145, v145                              // 000000007B68: 0A632391
	v_mul_f32_e32 v50, v146, v146                              // 000000007B6C: 0A652592
	v_mul_f32_e32 v51, v147, v147                              // 000000007B70: 0A672793
	v_fma_f32 v48, v48, s77, v1                                // 000000007B74: D1CB0030 04049B30
	v_fma_f32 v49, v49, s77, v1                                // 000000007B7C: D1CB0031 04049B31
	v_fma_f32 v50, v50, s77, v1                                // 000000007B84: D1CB0032 04049B32
	v_fma_f32 v51, v51, s77, v1                                // 000000007B8C: D1CB0033 04049B33
	v_mul_f32_e32 v48, v48, v144                               // 000000007B94: 0A612130
	v_mul_f32_e32 v49, v49, v145                               // 000000007B98: 0A632331
	v_mul_f32_e32 v50, v50, v146                               // 000000007B9C: 0A652532
	v_mul_f32_e32 v51, v51, v147                               // 000000007BA0: 0A672733
	v_mul_f32_e64 v48, v48, s6                                 // 000000007BA4: D1050030 00000D30
	v_mul_f32_e64 v49, v49, s6                                 // 000000007BAC: D1050031 00000D31
	v_mul_f32_e64 v50, v50, s6                                 // 000000007BB4: D1050032 00000D32
	v_mul_f32_e64 v51, v51, s6                                 // 000000007BBC: D1050033 00000D33
	v_exp_f32_e32 v48, v48                                     // 000000007BC4: 7E604130
	v_exp_f32_e32 v49, v49                                     // 000000007BC8: 7E624131
	v_exp_f32_e32 v50, v50                                     // 000000007BCC: 7E644132
	v_exp_f32_e32 v51, v51                                     // 000000007BD0: 7E664133
	buffer_load_dwordx4 a[36:39], v41, s[12:15], 0 offen       // 000000007BD4: E05C1000 80832429
	v_add_f32_e64 v48, v48, 1.0                                // 000000007BDC: D1010030 0001E530
	v_add_f32_e64 v49, v49, 1.0                                // 000000007BE4: D1010031 0001E531
	v_add_f32_e64 v50, v50, 1.0                                // 000000007BEC: D1010032 0001E532
	v_add_f32_e64 v51, v51, 1.0                                // 000000007BF4: D1010033 0001E533
	v_rcp_f32_e32 v48, v48                                     // 000000007BFC: 7E604530
	v_rcp_f32_e32 v49, v49                                     // 000000007C00: 7E624531
	v_rcp_f32_e32 v50, v50                                     // 000000007C04: 7E644532
	v_rcp_f32_e32 v51, v51                                     // 000000007C08: 7E664533
	v_mul_f32_e32 v144, v144, v48                              // 000000007C0C: 0B206190
	v_mul_f32_e32 v145, v145, v49                              // 000000007C10: 0B226391
	v_mul_f32_e32 v146, v146, v50                              // 000000007C14: 0B246592
	v_mul_f32_e32 v147, v147, v51                              // 000000007C18: 0B266793
	buffer_load_dwordx4 a[40:43], v42, s[12:15], 0 offen       // 000000007C1C: E05C1000 8083282A
	v_mul_f32_e32 v48, v148, v148                              // 000000007C24: 0A612994
	v_mul_f32_e32 v49, v149, v149                              // 000000007C28: 0A632B95
	v_mul_f32_e32 v50, v150, v150                              // 000000007C2C: 0A652D96
	v_mul_f32_e32 v51, v151, v151                              // 000000007C30: 0A672F97
	v_fma_f32 v48, v48, s77, v1                                // 000000007C34: D1CB0030 04049B30
	v_fma_f32 v49, v49, s77, v1                                // 000000007C3C: D1CB0031 04049B31
	v_fma_f32 v50, v50, s77, v1                                // 000000007C44: D1CB0032 04049B32
	v_fma_f32 v51, v51, s77, v1                                // 000000007C4C: D1CB0033 04049B33
	v_mul_f32_e32 v48, v48, v148                               // 000000007C54: 0A612930
	v_mul_f32_e32 v49, v49, v149                               // 000000007C58: 0A632B31
	v_mul_f32_e32 v50, v50, v150                               // 000000007C5C: 0A652D32
	v_mul_f32_e32 v51, v51, v151                               // 000000007C60: 0A672F33
	v_mul_f32_e64 v48, v48, s6                                 // 000000007C64: D1050030 00000D30
	v_mul_f32_e64 v49, v49, s6                                 // 000000007C6C: D1050031 00000D31
	v_mul_f32_e64 v50, v50, s6                                 // 000000007C74: D1050032 00000D32
	v_mul_f32_e64 v51, v51, s6                                 // 000000007C7C: D1050033 00000D33
	v_exp_f32_e32 v48, v48                                     // 000000007C84: 7E604130
	v_exp_f32_e32 v49, v49                                     // 000000007C88: 7E624131
	v_exp_f32_e32 v50, v50                                     // 000000007C8C: 7E644132
	v_exp_f32_e32 v51, v51                                     // 000000007C90: 7E664133
	buffer_load_dwordx4 a[44:47], v43, s[12:15], 0 offen       // 000000007C94: E05C1000 80832C2B
	s_add_u32 s12, s78, s12                                    // 000000007C9C: 800C0C4E
	s_addc_u32 s13, 0, s13                                     // 000000007CA0: 820D0D80
	v_add_f32_e64 v48, v48, 1.0                                // 000000007CA4: D1010030 0001E530
	v_add_f32_e64 v49, v49, 1.0                                // 000000007CAC: D1010031 0001E531
	v_add_f32_e64 v50, v50, 1.0                                // 000000007CB4: D1010032 0001E532
	v_add_f32_e64 v51, v51, 1.0                                // 000000007CBC: D1010033 0001E533
	v_rcp_f32_e32 v48, v48                                     // 000000007CC4: 7E604530
	v_rcp_f32_e32 v49, v49                                     // 000000007CC8: 7E624531
	v_rcp_f32_e32 v50, v50                                     // 000000007CCC: 7E644532
	v_rcp_f32_e32 v51, v51                                     // 000000007CD0: 7E664533
	v_mul_f32_e32 v148, v148, v48                              // 000000007CD4: 0B286194
	v_mul_f32_e32 v149, v149, v49                              // 000000007CD8: 0B2A6395
	v_mul_f32_e32 v150, v150, v50                              // 000000007CDC: 0B2C6596
	v_mul_f32_e32 v151, v151, v51                              // 000000007CE0: 0B2E6797
	s_waitcnt vmcnt(20)                                        // 000000007CE4: BF8C4F74
	buffer_load_dwordx4 a[48:51], v40, s[12:15], 0 offen       // 000000007CE8: E05C1000 80833028
	v_mul_f32_e32 v48, v152, v152                              // 000000007CF0: 0A613198
	v_mul_f32_e32 v49, v153, v153                              // 000000007CF4: 0A633399
	v_mul_f32_e32 v50, v154, v154                              // 000000007CF8: 0A65359A
	v_mul_f32_e32 v51, v155, v155                              // 000000007CFC: 0A67379B
	v_fma_f32 v48, v48, s77, v1                                // 000000007D00: D1CB0030 04049B30
	v_fma_f32 v49, v49, s77, v1                                // 000000007D08: D1CB0031 04049B31
	v_fma_f32 v50, v50, s77, v1                                // 000000007D10: D1CB0032 04049B32
	v_fma_f32 v51, v51, s77, v1                                // 000000007D18: D1CB0033 04049B33
	v_mul_f32_e32 v48, v48, v152                               // 000000007D20: 0A613130
	v_mul_f32_e32 v49, v49, v153                               // 000000007D24: 0A633331
	v_mul_f32_e32 v50, v50, v154                               // 000000007D28: 0A653532
	v_mul_f32_e32 v51, v51, v155                               // 000000007D2C: 0A673733
	v_mul_f32_e64 v48, v48, s6                                 // 000000007D30: D1050030 00000D30
	v_mul_f32_e64 v49, v49, s6                                 // 000000007D38: D1050031 00000D31
	v_mul_f32_e64 v50, v50, s6                                 // 000000007D40: D1050032 00000D32
	v_mul_f32_e64 v51, v51, s6                                 // 000000007D48: D1050033 00000D33
	v_exp_f32_e32 v48, v48                                     // 000000007D50: 7E604130
	v_exp_f32_e32 v49, v49                                     // 000000007D54: 7E624131
	v_exp_f32_e32 v50, v50                                     // 000000007D58: 7E644132
	v_exp_f32_e32 v51, v51                                     // 000000007D5C: 7E664133
	buffer_load_dwordx4 a[52:55], v41, s[12:15], 0 offen       // 000000007D60: E05C1000 80833429
	v_add_f32_e64 v48, v48, 1.0                                // 000000007D68: D1010030 0001E530
	v_add_f32_e64 v49, v49, 1.0                                // 000000007D70: D1010031 0001E531
	v_add_f32_e64 v50, v50, 1.0                                // 000000007D78: D1010032 0001E532
	v_add_f32_e64 v51, v51, 1.0                                // 000000007D80: D1010033 0001E533
	v_rcp_f32_e32 v48, v48                                     // 000000007D88: 7E604530
	v_rcp_f32_e32 v49, v49                                     // 000000007D8C: 7E624531
	v_rcp_f32_e32 v50, v50                                     // 000000007D90: 7E644532
	v_rcp_f32_e32 v51, v51                                     // 000000007D94: 7E664533
	v_mul_f32_e32 v152, v152, v48                              // 000000007D98: 0B306198
	v_mul_f32_e32 v153, v153, v49                              // 000000007D9C: 0B326399
	v_mul_f32_e32 v154, v154, v50                              // 000000007DA0: 0B34659A
	v_mul_f32_e32 v155, v155, v51                              // 000000007DA4: 0B36679B
	buffer_load_dwordx4 a[56:59], v42, s[12:15], 0 offen       // 000000007DA8: E05C1000 8083382A
	v_mul_f32_e32 v48, v156, v156                              // 000000007DB0: 0A61399C
	v_mul_f32_e32 v49, v157, v157                              // 000000007DB4: 0A633B9D
	v_mul_f32_e32 v50, v158, v158                              // 000000007DB8: 0A653D9E
	v_mul_f32_e32 v51, v159, v159                              // 000000007DBC: 0A673F9F
	v_fma_f32 v48, v48, s77, v1                                // 000000007DC0: D1CB0030 04049B30
	v_fma_f32 v49, v49, s77, v1                                // 000000007DC8: D1CB0031 04049B31
	v_fma_f32 v50, v50, s77, v1                                // 000000007DD0: D1CB0032 04049B32
	v_fma_f32 v51, v51, s77, v1                                // 000000007DD8: D1CB0033 04049B33
	v_mul_f32_e32 v48, v48, v156                               // 000000007DE0: 0A613930
	v_mul_f32_e32 v49, v49, v157                               // 000000007DE4: 0A633B31
	v_mul_f32_e32 v50, v50, v158                               // 000000007DE8: 0A653D32
	v_mul_f32_e32 v51, v51, v159                               // 000000007DEC: 0A673F33
	v_mul_f32_e64 v48, v48, s6                                 // 000000007DF0: D1050030 00000D30
	v_mul_f32_e64 v49, v49, s6                                 // 000000007DF8: D1050031 00000D31
	v_mul_f32_e64 v50, v50, s6                                 // 000000007E00: D1050032 00000D32
	v_mul_f32_e64 v51, v51, s6                                 // 000000007E08: D1050033 00000D33
	v_exp_f32_e32 v48, v48                                     // 000000007E10: 7E604130
	v_exp_f32_e32 v49, v49                                     // 000000007E14: 7E624131
	v_exp_f32_e32 v50, v50                                     // 000000007E18: 7E644132
	v_exp_f32_e32 v51, v51                                     // 000000007E1C: 7E664133
	buffer_load_dwordx4 a[60:63], v43, s[12:15], 0 offen       // 000000007E20: E05C1000 80833C2B
	s_add_u32 s12, s78, s12                                    // 000000007E28: 800C0C4E
	s_addc_u32 s13, 0, s13                                     // 000000007E2C: 820D0D80
	v_add_f32_e64 v48, v48, 1.0                                // 000000007E30: D1010030 0001E530
	v_add_f32_e64 v49, v49, 1.0                                // 000000007E38: D1010031 0001E531
	v_add_f32_e64 v50, v50, 1.0                                // 000000007E40: D1010032 0001E532
	v_add_f32_e64 v51, v51, 1.0                                // 000000007E48: D1010033 0001E533
	v_rcp_f32_e32 v48, v48                                     // 000000007E50: 7E604530
	v_rcp_f32_e32 v49, v49                                     // 000000007E54: 7E624531
	v_rcp_f32_e32 v50, v50                                     // 000000007E58: 7E644532
	v_rcp_f32_e32 v51, v51                                     // 000000007E5C: 7E664533
	v_mul_f32_e32 v156, v156, v48                              // 000000007E60: 0B38619C
	v_mul_f32_e32 v157, v157, v49                              // 000000007E64: 0B3A639D
	v_mul_f32_e32 v158, v158, v50                              // 000000007E68: 0B3C659E
	v_mul_f32_e32 v159, v159, v51                              // 000000007E6C: 0B3E679F
	s_waitcnt vmcnt(20)                                        // 000000007E70: BF8C4F74
	buffer_load_dwordx4 a[64:67], v40, s[12:15], 0 offen       // 000000007E74: E05C1000 80834028
	v_mul_f32_e32 v48, v160, v160                              // 000000007E7C: 0A6141A0
	v_mul_f32_e32 v49, v161, v161                              // 000000007E80: 0A6343A1
	v_mul_f32_e32 v50, v162, v162                              // 000000007E84: 0A6545A2
	v_mul_f32_e32 v51, v163, v163                              // 000000007E88: 0A6747A3
	v_fma_f32 v48, v48, s77, v1                                // 000000007E8C: D1CB0030 04049B30
	v_fma_f32 v49, v49, s77, v1                                // 000000007E94: D1CB0031 04049B31
	v_fma_f32 v50, v50, s77, v1                                // 000000007E9C: D1CB0032 04049B32
	v_fma_f32 v51, v51, s77, v1                                // 000000007EA4: D1CB0033 04049B33
	v_mul_f32_e32 v48, v48, v160                               // 000000007EAC: 0A614130
	v_mul_f32_e32 v49, v49, v161                               // 000000007EB0: 0A634331
	v_mul_f32_e32 v50, v50, v162                               // 000000007EB4: 0A654532
	v_mul_f32_e32 v51, v51, v163                               // 000000007EB8: 0A674733
	v_mul_f32_e64 v48, v48, s6                                 // 000000007EBC: D1050030 00000D30
	v_mul_f32_e64 v49, v49, s6                                 // 000000007EC4: D1050031 00000D31
	v_mul_f32_e64 v50, v50, s6                                 // 000000007ECC: D1050032 00000D32
	v_mul_f32_e64 v51, v51, s6                                 // 000000007ED4: D1050033 00000D33
	v_exp_f32_e32 v48, v48                                     // 000000007EDC: 7E604130
	v_exp_f32_e32 v49, v49                                     // 000000007EE0: 7E624131
	v_exp_f32_e32 v50, v50                                     // 000000007EE4: 7E644132
	v_exp_f32_e32 v51, v51                                     // 000000007EE8: 7E664133
	buffer_load_dwordx4 a[68:71], v41, s[12:15], 0 offen       // 000000007EEC: E05C1000 80834429
	v_add_f32_e64 v48, v48, 1.0                                // 000000007EF4: D1010030 0001E530
	v_add_f32_e64 v49, v49, 1.0                                // 000000007EFC: D1010031 0001E531
	v_add_f32_e64 v50, v50, 1.0                                // 000000007F04: D1010032 0001E532
	v_add_f32_e64 v51, v51, 1.0                                // 000000007F0C: D1010033 0001E533
	v_rcp_f32_e32 v48, v48                                     // 000000007F14: 7E604530
	v_rcp_f32_e32 v49, v49                                     // 000000007F18: 7E624531
	v_rcp_f32_e32 v50, v50                                     // 000000007F1C: 7E644532
	v_rcp_f32_e32 v51, v51                                     // 000000007F20: 7E664533
	v_mul_f32_e32 v160, v160, v48                              // 000000007F24: 0B4061A0
	v_mul_f32_e32 v161, v161, v49                              // 000000007F28: 0B4263A1
	v_mul_f32_e32 v162, v162, v50                              // 000000007F2C: 0B4465A2
	v_mul_f32_e32 v163, v163, v51                              // 000000007F30: 0B4667A3
	buffer_load_dwordx4 a[72:75], v42, s[12:15], 0 offen       // 000000007F34: E05C1000 8083482A
	v_mul_f32_e32 v48, v164, v164                              // 000000007F3C: 0A6149A4
	v_mul_f32_e32 v49, v165, v165                              // 000000007F40: 0A634BA5
	v_mul_f32_e32 v50, v166, v166                              // 000000007F44: 0A654DA6
	v_mul_f32_e32 v51, v167, v167                              // 000000007F48: 0A674FA7
	v_fma_f32 v48, v48, s77, v1                                // 000000007F4C: D1CB0030 04049B30
	v_fma_f32 v49, v49, s77, v1                                // 000000007F54: D1CB0031 04049B31
	v_fma_f32 v50, v50, s77, v1                                // 000000007F5C: D1CB0032 04049B32
	v_fma_f32 v51, v51, s77, v1                                // 000000007F64: D1CB0033 04049B33
	v_mul_f32_e32 v48, v48, v164                               // 000000007F6C: 0A614930
	v_mul_f32_e32 v49, v49, v165                               // 000000007F70: 0A634B31
	v_mul_f32_e32 v50, v50, v166                               // 000000007F74: 0A654D32
	v_mul_f32_e32 v51, v51, v167                               // 000000007F78: 0A674F33
	v_mul_f32_e64 v48, v48, s6                                 // 000000007F7C: D1050030 00000D30
	v_mul_f32_e64 v49, v49, s6                                 // 000000007F84: D1050031 00000D31
	v_mul_f32_e64 v50, v50, s6                                 // 000000007F8C: D1050032 00000D32
	v_mul_f32_e64 v51, v51, s6                                 // 000000007F94: D1050033 00000D33
	v_exp_f32_e32 v48, v48                                     // 000000007F9C: 7E604130
	v_exp_f32_e32 v49, v49                                     // 000000007FA0: 7E624131
	v_exp_f32_e32 v50, v50                                     // 000000007FA4: 7E644132
	v_exp_f32_e32 v51, v51                                     // 000000007FA8: 7E664133
	buffer_load_dwordx4 a[76:79], v43, s[12:15], 0 offen       // 000000007FAC: E05C1000 80834C2B
	s_add_u32 s12, s78, s12                                    // 000000007FB4: 800C0C4E
	s_addc_u32 s13, 0, s13                                     // 000000007FB8: 820D0D80
	v_add_f32_e64 v48, v48, 1.0                                // 000000007FBC: D1010030 0001E530
	v_add_f32_e64 v49, v49, 1.0                                // 000000007FC4: D1010031 0001E531
	v_add_f32_e64 v50, v50, 1.0                                // 000000007FCC: D1010032 0001E532
	v_add_f32_e64 v51, v51, 1.0                                // 000000007FD4: D1010033 0001E533
	v_rcp_f32_e32 v48, v48                                     // 000000007FDC: 7E604530
	v_rcp_f32_e32 v49, v49                                     // 000000007FE0: 7E624531
	v_rcp_f32_e32 v50, v50                                     // 000000007FE4: 7E644532
	v_rcp_f32_e32 v51, v51                                     // 000000007FE8: 7E664533
	v_mul_f32_e32 v164, v164, v48                              // 000000007FEC: 0B4861A4
	v_mul_f32_e32 v165, v165, v49                              // 000000007FF0: 0B4A63A5
	v_mul_f32_e32 v166, v166, v50                              // 000000007FF4: 0B4C65A6
	v_mul_f32_e32 v167, v167, v51                              // 000000007FF8: 0B4E67A7
	s_waitcnt vmcnt(20)                                        // 000000007FFC: BF8C4F74
	buffer_load_dwordx4 a[80:83], v40, s[12:15], 0 offen       // 000000008000: E05C1000 80835028
	v_mul_f32_e32 v48, v168, v168                              // 000000008008: 0A6151A8
	v_mul_f32_e32 v49, v169, v169                              // 00000000800C: 0A6353A9
	v_mul_f32_e32 v50, v170, v170                              // 000000008010: 0A6555AA
	v_mul_f32_e32 v51, v171, v171                              // 000000008014: 0A6757AB
	v_fma_f32 v48, v48, s77, v1                                // 000000008018: D1CB0030 04049B30
	v_fma_f32 v49, v49, s77, v1                                // 000000008020: D1CB0031 04049B31
	v_fma_f32 v50, v50, s77, v1                                // 000000008028: D1CB0032 04049B32
	v_fma_f32 v51, v51, s77, v1                                // 000000008030: D1CB0033 04049B33
	v_mul_f32_e32 v48, v48, v168                               // 000000008038: 0A615130
	v_mul_f32_e32 v49, v49, v169                               // 00000000803C: 0A635331
	v_mul_f32_e32 v50, v50, v170                               // 000000008040: 0A655532
	v_mul_f32_e32 v51, v51, v171                               // 000000008044: 0A675733
	v_mul_f32_e64 v48, v48, s6                                 // 000000008048: D1050030 00000D30
	v_mul_f32_e64 v49, v49, s6                                 // 000000008050: D1050031 00000D31
	v_mul_f32_e64 v50, v50, s6                                 // 000000008058: D1050032 00000D32
	v_mul_f32_e64 v51, v51, s6                                 // 000000008060: D1050033 00000D33
	v_exp_f32_e32 v48, v48                                     // 000000008068: 7E604130
	v_exp_f32_e32 v49, v49                                     // 00000000806C: 7E624131
	v_exp_f32_e32 v50, v50                                     // 000000008070: 7E644132
	v_exp_f32_e32 v51, v51                                     // 000000008074: 7E664133
	buffer_load_dwordx4 a[84:87], v41, s[12:15], 0 offen       // 000000008078: E05C1000 80835429
	v_add_f32_e64 v48, v48, 1.0                                // 000000008080: D1010030 0001E530
	v_add_f32_e64 v49, v49, 1.0                                // 000000008088: D1010031 0001E531
	v_add_f32_e64 v50, v50, 1.0                                // 000000008090: D1010032 0001E532
	v_add_f32_e64 v51, v51, 1.0                                // 000000008098: D1010033 0001E533
	v_rcp_f32_e32 v48, v48                                     // 0000000080A0: 7E604530
	v_rcp_f32_e32 v49, v49                                     // 0000000080A4: 7E624531
	v_rcp_f32_e32 v50, v50                                     // 0000000080A8: 7E644532
	v_rcp_f32_e32 v51, v51                                     // 0000000080AC: 7E664533
	v_mul_f32_e32 v168, v168, v48                              // 0000000080B0: 0B5061A8
	v_mul_f32_e32 v169, v169, v49                              // 0000000080B4: 0B5263A9
	v_mul_f32_e32 v170, v170, v50                              // 0000000080B8: 0B5465AA
	v_mul_f32_e32 v171, v171, v51                              // 0000000080BC: 0B5667AB
	buffer_load_dwordx4 a[88:91], v42, s[12:15], 0 offen       // 0000000080C0: E05C1000 8083582A
	v_mul_f32_e32 v48, v172, v172                              // 0000000080C8: 0A6159AC
	v_mul_f32_e32 v49, v173, v173                              // 0000000080CC: 0A635BAD
	v_mul_f32_e32 v50, v174, v174                              // 0000000080D0: 0A655DAE
	v_mul_f32_e32 v51, v175, v175                              // 0000000080D4: 0A675FAF
	v_fma_f32 v48, v48, s77, v1                                // 0000000080D8: D1CB0030 04049B30
	v_fma_f32 v49, v49, s77, v1                                // 0000000080E0: D1CB0031 04049B31
	v_fma_f32 v50, v50, s77, v1                                // 0000000080E8: D1CB0032 04049B32
	v_fma_f32 v51, v51, s77, v1                                // 0000000080F0: D1CB0033 04049B33
	v_mul_f32_e32 v48, v48, v172                               // 0000000080F8: 0A615930
	v_mul_f32_e32 v49, v49, v173                               // 0000000080FC: 0A635B31
	v_mul_f32_e32 v50, v50, v174                               // 000000008100: 0A655D32
	v_mul_f32_e32 v51, v51, v175                               // 000000008104: 0A675F33
	v_mul_f32_e64 v48, v48, s6                                 // 000000008108: D1050030 00000D30
	v_mul_f32_e64 v49, v49, s6                                 // 000000008110: D1050031 00000D31
	v_mul_f32_e64 v50, v50, s6                                 // 000000008118: D1050032 00000D32
	v_mul_f32_e64 v51, v51, s6                                 // 000000008120: D1050033 00000D33
	v_exp_f32_e32 v48, v48                                     // 000000008128: 7E604130
	v_exp_f32_e32 v49, v49                                     // 00000000812C: 7E624131
	v_exp_f32_e32 v50, v50                                     // 000000008130: 7E644132
	v_exp_f32_e32 v51, v51                                     // 000000008134: 7E664133
	buffer_load_dwordx4 a[92:95], v43, s[12:15], 0 offen       // 000000008138: E05C1000 80835C2B
	v_add_f32_e64 v48, v48, 1.0                                // 000000008140: D1010030 0001E530
	v_add_f32_e64 v49, v49, 1.0                                // 000000008148: D1010031 0001E531
	v_add_f32_e64 v50, v50, 1.0                                // 000000008150: D1010032 0001E532
	v_add_f32_e64 v51, v51, 1.0                                // 000000008158: D1010033 0001E533
	v_rcp_f32_e32 v48, v48                                     // 000000008160: 7E604530
	v_rcp_f32_e32 v49, v49                                     // 000000008164: 7E624531
	v_rcp_f32_e32 v50, v50                                     // 000000008168: 7E644532
	v_rcp_f32_e32 v51, v51                                     // 00000000816C: 7E664533
	v_mul_f32_e32 v172, v172, v48                              // 000000008170: 0B5861AC
	v_mul_f32_e32 v173, v173, v49                              // 000000008174: 0B5A63AD
	v_mul_f32_e32 v174, v174, v50                              // 000000008178: 0B5C65AE
	v_mul_f32_e32 v175, v175, v51                              // 00000000817C: 0B5E67AF
	v_mul_f32_dpp v128, v18, v128 row_newbcast:0 row_mask:0xf bank_mask:0xf// 000000008180: 0B0100FA FF015012
	v_mul_f32_dpp v129, v18, v129 row_newbcast:1 row_mask:0xf bank_mask:0xf// 000000008188: 0B0302FA FF015112
	v_mul_f32_dpp v130, v18, v130 row_newbcast:2 row_mask:0xf bank_mask:0xf// 000000008190: 0B0504FA FF015212
	v_mul_f32_dpp v131, v18, v131 row_newbcast:3 row_mask:0xf bank_mask:0xf// 000000008198: 0B0706FA FF015312
	v_mul_f32_dpp v132, v18, v132 row_newbcast:0 row_mask:0xf bank_mask:0xf// 0000000081A0: 0B0908FA FF015012
	v_mul_f32_dpp v133, v18, v133 row_newbcast:1 row_mask:0xf bank_mask:0xf// 0000000081A8: 0B0B0AFA FF015112
	v_mul_f32_dpp v134, v18, v134 row_newbcast:2 row_mask:0xf bank_mask:0xf// 0000000081B0: 0B0D0CFA FF015212
	v_mul_f32_dpp v135, v18, v135 row_newbcast:3 row_mask:0xf bank_mask:0xf// 0000000081B8: 0B0F0EFA FF015312
	v_mul_f32_dpp v136, v18, v136 row_newbcast:4 row_mask:0xf bank_mask:0xf// 0000000081C0: 0B1110FA FF015412
	v_mul_f32_dpp v137, v18, v137 row_newbcast:5 row_mask:0xf bank_mask:0xf// 0000000081C8: 0B1312FA FF015512
	v_mul_f32_dpp v138, v18, v138 row_newbcast:6 row_mask:0xf bank_mask:0xf// 0000000081D0: 0B1514FA FF015612
	v_mul_f32_dpp v139, v18, v139 row_newbcast:7 row_mask:0xf bank_mask:0xf// 0000000081D8: 0B1716FA FF015712
	v_mul_f32_dpp v140, v18, v140 row_newbcast:4 row_mask:0xf bank_mask:0xf// 0000000081E0: 0B1918FA FF015412
	v_mul_f32_dpp v141, v18, v141 row_newbcast:5 row_mask:0xf bank_mask:0xf// 0000000081E8: 0B1B1AFA FF015512
	v_mul_f32_dpp v142, v18, v142 row_newbcast:6 row_mask:0xf bank_mask:0xf// 0000000081F0: 0B1D1CFA FF015612
	v_mul_f32_dpp v143, v18, v143 row_newbcast:7 row_mask:0xf bank_mask:0xf// 0000000081F8: 0B1F1EFA FF015712
	v_mul_f32_dpp v144, v18, v144 row_newbcast:8 row_mask:0xf bank_mask:0xf// 000000008200: 0B2120FA FF015812
	v_mul_f32_dpp v145, v18, v145 row_newbcast:9 row_mask:0xf bank_mask:0xf// 000000008208: 0B2322FA FF015912
	v_mul_f32_dpp v146, v18, v146 row_newbcast:10 row_mask:0xf bank_mask:0xf// 000000008210: 0B2524FA FF015A12
	v_mul_f32_dpp v147, v18, v147 row_newbcast:11 row_mask:0xf bank_mask:0xf// 000000008218: 0B2726FA FF015B12
	v_mul_f32_dpp v148, v18, v148 row_newbcast:8 row_mask:0xf bank_mask:0xf// 000000008220: 0B2928FA FF015812
	v_mul_f32_dpp v149, v18, v149 row_newbcast:9 row_mask:0xf bank_mask:0xf// 000000008228: 0B2B2AFA FF015912
	v_mul_f32_dpp v150, v18, v150 row_newbcast:10 row_mask:0xf bank_mask:0xf// 000000008230: 0B2D2CFA FF015A12
	v_mul_f32_dpp v151, v18, v151 row_newbcast:11 row_mask:0xf bank_mask:0xf// 000000008238: 0B2F2EFA FF015B12
	v_mul_f32_dpp v152, v18, v152 row_newbcast:12 row_mask:0xf bank_mask:0xf// 000000008240: 0B3130FA FF015C12
	v_mul_f32_dpp v153, v18, v153 row_newbcast:13 row_mask:0xf bank_mask:0xf// 000000008248: 0B3332FA FF015D12
	v_mul_f32_dpp v154, v18, v154 row_newbcast:14 row_mask:0xf bank_mask:0xf// 000000008250: 0B3534FA FF015E12
	v_mul_f32_dpp v155, v18, v155 row_newbcast:15 row_mask:0xf bank_mask:0xf// 000000008258: 0B3736FA FF015F12
	v_mul_f32_dpp v156, v18, v156 row_newbcast:12 row_mask:0xf bank_mask:0xf// 000000008260: 0B3938FA FF015C12
	v_mul_f32_dpp v157, v18, v157 row_newbcast:13 row_mask:0xf bank_mask:0xf// 000000008268: 0B3B3AFA FF015D12
	v_mul_f32_dpp v158, v18, v158 row_newbcast:14 row_mask:0xf bank_mask:0xf// 000000008270: 0B3D3CFA FF015E12
	v_mul_f32_dpp v159, v18, v159 row_newbcast:15 row_mask:0xf bank_mask:0xf// 000000008278: 0B3F3EFA FF015F12
	v_mul_f32_dpp v160, v19, v160 row_newbcast:0 row_mask:0xf bank_mask:0xf// 000000008280: 0B4140FA FF015013
	v_mul_f32_dpp v161, v19, v161 row_newbcast:1 row_mask:0xf bank_mask:0xf// 000000008288: 0B4342FA FF015113
	v_mul_f32_dpp v162, v19, v162 row_newbcast:2 row_mask:0xf bank_mask:0xf// 000000008290: 0B4544FA FF015213
	v_mul_f32_dpp v163, v19, v163 row_newbcast:3 row_mask:0xf bank_mask:0xf// 000000008298: 0B4746FA FF015313
	v_mul_f32_dpp v164, v19, v164 row_newbcast:0 row_mask:0xf bank_mask:0xf// 0000000082A0: 0B4948FA FF015013
	v_mul_f32_dpp v165, v19, v165 row_newbcast:1 row_mask:0xf bank_mask:0xf// 0000000082A8: 0B4B4AFA FF015113
	v_mul_f32_dpp v166, v19, v166 row_newbcast:2 row_mask:0xf bank_mask:0xf// 0000000082B0: 0B4D4CFA FF015213
	v_mul_f32_dpp v167, v19, v167 row_newbcast:3 row_mask:0xf bank_mask:0xf// 0000000082B8: 0B4F4EFA FF015313
	v_mul_f32_dpp v168, v19, v168 row_newbcast:4 row_mask:0xf bank_mask:0xf// 0000000082C0: 0B5150FA FF015413
	v_mul_f32_dpp v169, v19, v169 row_newbcast:5 row_mask:0xf bank_mask:0xf// 0000000082C8: 0B5352FA FF015513
	v_mul_f32_dpp v170, v19, v170 row_newbcast:6 row_mask:0xf bank_mask:0xf// 0000000082D0: 0B5554FA FF015613
	v_mul_f32_dpp v171, v19, v171 row_newbcast:7 row_mask:0xf bank_mask:0xf// 0000000082D8: 0B5756FA FF015713
	v_mul_f32_dpp v172, v19, v172 row_newbcast:4 row_mask:0xf bank_mask:0xf// 0000000082E0: 0B5958FA FF015413
	v_mul_f32_dpp v173, v19, v173 row_newbcast:5 row_mask:0xf bank_mask:0xf// 0000000082E8: 0B5B5AFA FF015513
	v_mul_f32_dpp v174, v19, v174 row_newbcast:6 row_mask:0xf bank_mask:0xf// 0000000082F0: 0B5D5CFA FF015613
	v_mul_f32_dpp v175, v19, v175 row_newbcast:7 row_mask:0xf bank_mask:0xf// 0000000082F8: 0B5F5EFA FF015713
	buffer_load_dword v12, v5, s[16:19], 0 offen               // 000000008300: E0501000 80040C05
	v_mov_b32_e32 v22, 0x358637bd                              // 000000008308: 7E2C02FF 358637BD
	v_mov_b32_e32 v23, 0x358637bd                              // 000000008310: 7E2E02FF 358637BD
	v_max3_f32 v22, |v128|, |v129|, v22                        // 000000008318: D1D30316 045B0380
	v_max3_f32 v22, |v130|, |v131|, v22                        // 000000008320: D1D30316 045B0782
	v_max3_f32 v23, |v132|, |v133|, v23                        // 000000008328: D1D30317 045F0B84
	v_max3_f32 v23, |v134|, |v135|, v23                        // 000000008330: D1D30317 045F0F86
	v_max3_f32 v22, |v136|, |v137|, v22                        // 000000008338: D1D30316 045B1388
	v_max3_f32 v22, |v138|, |v139|, v22                        // 000000008340: D1D30316 045B178A
	v_max3_f32 v23, |v140|, |v141|, v23                        // 000000008348: D1D30317 045F1B8C
	v_max3_f32 v23, |v142|, |v143|, v23                        // 000000008350: D1D30317 045F1F8E
	v_max3_f32 v22, |v144|, |v145|, v22                        // 000000008358: D1D30316 045B2390
	v_max3_f32 v22, |v146|, |v147|, v22                        // 000000008360: D1D30316 045B2792
	v_max3_f32 v23, |v148|, |v149|, v23                        // 000000008368: D1D30317 045F2B94
	v_max3_f32 v23, |v150|, |v151|, v23                        // 000000008370: D1D30317 045F2F96
	v_max3_f32 v22, |v152|, |v153|, v22                        // 000000008378: D1D30316 045B3398
	v_max3_f32 v22, |v154|, |v155|, v22                        // 000000008380: D1D30316 045B379A
	v_max3_f32 v23, |v156|, |v157|, v23                        // 000000008388: D1D30317 045F3B9C
	v_max3_f32 v23, |v158|, |v159|, v23                        // 000000008390: D1D30317 045F3F9E
	v_max3_f32 v22, |v160|, |v161|, v22                        // 000000008398: D1D30316 045B43A0
	v_max3_f32 v22, |v162|, |v163|, v22                        // 0000000083A0: D1D30316 045B47A2
	v_max3_f32 v23, |v164|, |v165|, v23                        // 0000000083A8: D1D30317 045F4BA4
	v_max3_f32 v23, |v166|, |v167|, v23                        // 0000000083B0: D1D30317 045F4FA6
	v_max3_f32 v22, |v168|, |v169|, v22                        // 0000000083B8: D1D30316 045B53A8
	v_max3_f32 v22, |v170|, |v171|, v22                        // 0000000083C0: D1D30316 045B57AA
	v_max3_f32 v23, |v172|, |v173|, v23                        // 0000000083C8: D1D30317 045F5BAC
	v_max3_f32 v23, |v174|, |v175|, v23                        // 0000000083D0: D1D30317 045F5FAE
	v_lshlrev_b32_e32 v48, 3, v0                               // 0000000083D8: 24600083
	s_mul_i32 s60, 0x200, s7                                   // 0000000083DC: 923C07FF 00000200
	v_add_u32_e32 v48, s60, v48                                // 0000000083E4: 6860603C
	ds_write_b64 v48, v[22:23] offset:16640                    // 0000000083E8: D89A4100 00001630
	s_waitcnt lgkmcnt(0)                                       // 0000000083F0: BF8CC07F
	s_barrier                                                  // 0000000083F4: BF8A0000
	v_and_b32_e32 v48, 15, v0                                  // 0000000083F8: 2660008F
	v_lshlrev_b32_e32 v48, 3, v48                              // 0000000083FC: 24606083
	ds_read_b64 v[96:97], v48 offset:16640                     // 000000008400: D8EC4100 60000030
	ds_read_b64 v[98:99], v48 offset:16768                     // 000000008408: D8EC4180 62000030
	ds_read_b64 v[100:101], v48 offset:16896                   // 000000008410: D8EC4200 64000030
	ds_read_b64 v[102:103], v48 offset:17024                   // 000000008418: D8EC4280 66000030
	ds_read_b64 v[104:105], v48 offset:17152                   // 000000008420: D8EC4300 68000030
	ds_read_b64 v[106:107], v48 offset:17280                   // 000000008428: D8EC4380 6A000030
	ds_read_b64 v[108:109], v48 offset:17408                   // 000000008430: D8EC4400 6C000030
	ds_read_b64 v[110:111], v48 offset:17536                   // 000000008438: D8EC4480 6E000030
	ds_read_b64 v[112:113], v48 offset:17664                   // 000000008440: D8EC4500 70000030
	ds_read_b64 v[114:115], v48 offset:17792                   // 000000008448: D8EC4580 72000030
	ds_read_b64 v[116:117], v48 offset:17920                   // 000000008450: D8EC4600 74000030
	ds_read_b64 v[118:119], v48 offset:18048                   // 000000008458: D8EC4680 76000030
	ds_read_b64 v[120:121], v48 offset:18176                   // 000000008460: D8EC4700 78000030
	ds_read_b64 v[122:123], v48 offset:18304                   // 000000008468: D8EC4780 7A000030
	ds_read_b64 v[124:125], v48 offset:18432                   // 000000008470: D8EC4800 7C000030
	ds_read_b64 v[126:127], v48 offset:18560                   // 000000008478: D8EC4880 7E000030
	s_waitcnt lgkmcnt(0)                                       // 000000008480: BF8CC07F
	v_max3_f32 v22, |v96|, |v98|, v22                          // 000000008484: D1D30316 045AC560
	v_max3_f32 v23, |v97|, |v99|, v23                          // 00000000848C: D1D30317 045EC761
	v_max3_f32 v22, |v100|, |v102|, v22                        // 000000008494: D1D30316 045ACD64
	v_max3_f32 v23, |v101|, |v103|, v23                        // 00000000849C: D1D30317 045ECF65
	v_max3_f32 v22, |v104|, |v106|, v22                        // 0000000084A4: D1D30316 045AD568
	v_max3_f32 v23, |v105|, |v107|, v23                        // 0000000084AC: D1D30317 045ED769
	v_max3_f32 v22, |v108|, |v110|, v22                        // 0000000084B4: D1D30316 045ADD6C
	v_max3_f32 v23, |v109|, |v111|, v23                        // 0000000084BC: D1D30317 045EDF6D
	v_max3_f32 v22, |v112|, |v114|, v22                        // 0000000084C4: D1D30316 045AE570
	v_max3_f32 v23, |v113|, |v115|, v23                        // 0000000084CC: D1D30317 045EE771
	v_max3_f32 v22, |v116|, |v118|, v22                        // 0000000084D4: D1D30316 045AED74
	v_max3_f32 v23, |v117|, |v119|, v23                        // 0000000084DC: D1D30317 045EEF75
	v_max3_f32 v22, |v120|, |v122|, v22                        // 0000000084E4: D1D30316 045AF578
	v_max3_f32 v23, |v121|, |v123|, v23                        // 0000000084EC: D1D30317 045EF779
	v_max3_f32 v22, |v124|, |v126|, v22                        // 0000000084F4: D1D30316 045AFD7C
	v_max3_f32 v23, |v125|, |v127|, v23                        // 0000000084FC: D1D30317 045EFF7D
	v_rcp_f32_e32 v22, v22                                     // 000000008504: 7E2C4516
	v_rcp_f32_e32 v23, v23                                     // 000000008508: 7E2E4517
	v_mul_f32_e32 v22, 0x42fe0000, v22                         // 00000000850C: 0A2C2CFF 42FE0000
	v_mul_f32_e32 v23, 0x42fe0000, v23                         // 000000008514: 0A2E2EFF 42FE0000
	v_mul_f32_e32 v128, v22, v128                              // 00000000851C: 0B010116
	v_mul_f32_e32 v129, v22, v129                              // 000000008520: 0B030316
	v_mul_f32_e32 v130, v22, v130                              // 000000008524: 0B050516
	v_mul_f32_e32 v131, v22, v131                              // 000000008528: 0B070716
	v_cvt_i32_f32_e32 v128, v128                               // 00000000852C: 7F001180
	v_cvt_i32_f32_e32 v129, v129                               // 000000008530: 7F021181
	v_cvt_i32_f32_e32 v130, v130                               // 000000008534: 7F041182
	v_cvt_i32_f32_e32 v131, v131                               // 000000008538: 7F061183
	v_perm_b32 v128, v129, v128, s53                           // 00000000853C: D1ED0080 00D70181
	v_perm_b32 v128, v130, v128, s54                           // 000000008544: D1ED0080 00DB0182
	v_perm_b32 v128, v131, v128, s55                           // 00000000854C: D1ED0080 00DF0183
	v_mul_f32_e32 v132, v23, v132                              // 000000008554: 0B090917
	v_mul_f32_e32 v133, v23, v133                              // 000000008558: 0B0B0B17
	v_mul_f32_e32 v134, v23, v134                              // 00000000855C: 0B0D0D17
	v_mul_f32_e32 v135, v23, v135                              // 000000008560: 0B0F0F17
	v_cvt_i32_f32_e32 v132, v132                               // 000000008564: 7F081184
	v_cvt_i32_f32_e32 v133, v133                               // 000000008568: 7F0A1185
	v_cvt_i32_f32_e32 v134, v134                               // 00000000856C: 7F0C1186
	v_cvt_i32_f32_e32 v135, v135                               // 000000008570: 7F0E1187
	v_perm_b32 v129, v133, v132, s53                           // 000000008574: D1ED0081 00D70985
	v_perm_b32 v129, v134, v129, s54                           // 00000000857C: D1ED0081 00DB0386
	v_perm_b32 v129, v135, v129, s55                           // 000000008584: D1ED0081 00DF0387
	v_mul_f32_e32 v136, v22, v136                              // 00000000858C: 0B111116
	v_mul_f32_e32 v137, v22, v137                              // 000000008590: 0B131316
	v_mul_f32_e32 v138, v22, v138                              // 000000008594: 0B151516
	v_mul_f32_e32 v139, v22, v139                              // 000000008598: 0B171716
	v_cvt_i32_f32_e32 v136, v136                               // 00000000859C: 7F101188
	v_cvt_i32_f32_e32 v137, v137                               // 0000000085A0: 7F121189
	v_cvt_i32_f32_e32 v138, v138                               // 0000000085A4: 7F14118A
	v_cvt_i32_f32_e32 v139, v139                               // 0000000085A8: 7F16118B
	v_perm_b32 v130, v137, v136, s53                           // 0000000085AC: D1ED0082 00D71189
	v_perm_b32 v130, v138, v130, s54                           // 0000000085B4: D1ED0082 00DB058A
	v_perm_b32 v130, v139, v130, s55                           // 0000000085BC: D1ED0082 00DF058B
	v_mul_f32_e32 v140, v23, v140                              // 0000000085C4: 0B191917
	v_mul_f32_e32 v141, v23, v141                              // 0000000085C8: 0B1B1B17
	v_mul_f32_e32 v142, v23, v142                              // 0000000085CC: 0B1D1D17
	v_mul_f32_e32 v143, v23, v143                              // 0000000085D0: 0B1F1F17
	v_cvt_i32_f32_e32 v140, v140                               // 0000000085D4: 7F18118C
	v_cvt_i32_f32_e32 v141, v141                               // 0000000085D8: 7F1A118D
	v_cvt_i32_f32_e32 v142, v142                               // 0000000085DC: 7F1C118E
	v_cvt_i32_f32_e32 v143, v143                               // 0000000085E0: 7F1E118F
	v_perm_b32 v131, v141, v140, s53                           // 0000000085E4: D1ED0083 00D7198D
	v_perm_b32 v131, v142, v131, s54                           // 0000000085EC: D1ED0083 00DB078E
	v_perm_b32 v131, v143, v131, s55                           // 0000000085F4: D1ED0083 00DF078F
	v_mul_f32_e32 v144, v22, v144                              // 0000000085FC: 0B212116
	v_mul_f32_e32 v145, v22, v145                              // 000000008600: 0B232316
	v_mul_f32_e32 v146, v22, v146                              // 000000008604: 0B252516
	v_mul_f32_e32 v147, v22, v147                              // 000000008608: 0B272716
	v_cvt_i32_f32_e32 v144, v144                               // 00000000860C: 7F201190
	v_cvt_i32_f32_e32 v145, v145                               // 000000008610: 7F221191
	v_cvt_i32_f32_e32 v146, v146                               // 000000008614: 7F241192
	v_cvt_i32_f32_e32 v147, v147                               // 000000008618: 7F261193
	v_perm_b32 v132, v145, v144, s53                           // 00000000861C: D1ED0084 00D72191
	v_perm_b32 v132, v146, v132, s54                           // 000000008624: D1ED0084 00DB0992
	v_perm_b32 v132, v147, v132, s55                           // 00000000862C: D1ED0084 00DF0993
	v_mul_f32_e32 v148, v23, v148                              // 000000008634: 0B292917
	v_mul_f32_e32 v149, v23, v149                              // 000000008638: 0B2B2B17
	v_mul_f32_e32 v150, v23, v150                              // 00000000863C: 0B2D2D17
	v_mul_f32_e32 v151, v23, v151                              // 000000008640: 0B2F2F17
	v_cvt_i32_f32_e32 v148, v148                               // 000000008644: 7F281194
	v_cvt_i32_f32_e32 v149, v149                               // 000000008648: 7F2A1195
	v_cvt_i32_f32_e32 v150, v150                               // 00000000864C: 7F2C1196
	v_cvt_i32_f32_e32 v151, v151                               // 000000008650: 7F2E1197
	v_perm_b32 v133, v149, v148, s53                           // 000000008654: D1ED0085 00D72995
	v_perm_b32 v133, v150, v133, s54                           // 00000000865C: D1ED0085 00DB0B96
	v_perm_b32 v133, v151, v133, s55                           // 000000008664: D1ED0085 00DF0B97
	v_mul_f32_e32 v152, v22, v152                              // 00000000866C: 0B313116
	v_mul_f32_e32 v153, v22, v153                              // 000000008670: 0B333316
	v_mul_f32_e32 v154, v22, v154                              // 000000008674: 0B353516
	v_mul_f32_e32 v155, v22, v155                              // 000000008678: 0B373716
	v_cvt_i32_f32_e32 v152, v152                               // 00000000867C: 7F301198
	v_cvt_i32_f32_e32 v153, v153                               // 000000008680: 7F321199
	v_cvt_i32_f32_e32 v154, v154                               // 000000008684: 7F34119A
	v_cvt_i32_f32_e32 v155, v155                               // 000000008688: 7F36119B
	v_perm_b32 v134, v153, v152, s53                           // 00000000868C: D1ED0086 00D73199
	v_perm_b32 v134, v154, v134, s54                           // 000000008694: D1ED0086 00DB0D9A
	v_perm_b32 v134, v155, v134, s55                           // 00000000869C: D1ED0086 00DF0D9B
	v_mul_f32_e32 v156, v23, v156                              // 0000000086A4: 0B393917
	v_mul_f32_e32 v157, v23, v157                              // 0000000086A8: 0B3B3B17
	v_mul_f32_e32 v158, v23, v158                              // 0000000086AC: 0B3D3D17
	v_mul_f32_e32 v159, v23, v159                              // 0000000086B0: 0B3F3F17
	v_cvt_i32_f32_e32 v156, v156                               // 0000000086B4: 7F38119C
	v_cvt_i32_f32_e32 v157, v157                               // 0000000086B8: 7F3A119D
	v_cvt_i32_f32_e32 v158, v158                               // 0000000086BC: 7F3C119E
	v_cvt_i32_f32_e32 v159, v159                               // 0000000086C0: 7F3E119F
	v_perm_b32 v135, v157, v156, s53                           // 0000000086C4: D1ED0087 00D7399D
	v_perm_b32 v135, v158, v135, s54                           // 0000000086CC: D1ED0087 00DB0F9E
	v_perm_b32 v135, v159, v135, s55                           // 0000000086D4: D1ED0087 00DF0F9F
	v_mul_f32_e32 v160, v22, v160                              // 0000000086DC: 0B414116
	v_mul_f32_e32 v161, v22, v161                              // 0000000086E0: 0B434316
	v_mul_f32_e32 v162, v22, v162                              // 0000000086E4: 0B454516
	v_mul_f32_e32 v163, v22, v163                              // 0000000086E8: 0B474716
	v_cvt_i32_f32_e32 v160, v160                               // 0000000086EC: 7F4011A0
	v_cvt_i32_f32_e32 v161, v161                               // 0000000086F0: 7F4211A1
	v_cvt_i32_f32_e32 v162, v162                               // 0000000086F4: 7F4411A2
	v_cvt_i32_f32_e32 v163, v163                               // 0000000086F8: 7F4611A3
	v_perm_b32 v136, v161, v160, s53                           // 0000000086FC: D1ED0088 00D741A1
	v_perm_b32 v136, v162, v136, s54                           // 000000008704: D1ED0088 00DB11A2
	v_perm_b32 v136, v163, v136, s55                           // 00000000870C: D1ED0088 00DF11A3
	v_mul_f32_e32 v164, v23, v164                              // 000000008714: 0B494917
	v_mul_f32_e32 v165, v23, v165                              // 000000008718: 0B4B4B17
	v_mul_f32_e32 v166, v23, v166                              // 00000000871C: 0B4D4D17
	v_mul_f32_e32 v167, v23, v167                              // 000000008720: 0B4F4F17
	v_cvt_i32_f32_e32 v164, v164                               // 000000008724: 7F4811A4
	v_cvt_i32_f32_e32 v165, v165                               // 000000008728: 7F4A11A5
	v_cvt_i32_f32_e32 v166, v166                               // 00000000872C: 7F4C11A6
	v_cvt_i32_f32_e32 v167, v167                               // 000000008730: 7F4E11A7
	v_perm_b32 v137, v165, v164, s53                           // 000000008734: D1ED0089 00D749A5
	v_perm_b32 v137, v166, v137, s54                           // 00000000873C: D1ED0089 00DB13A6
	v_perm_b32 v137, v167, v137, s55                           // 000000008744: D1ED0089 00DF13A7
	v_mul_f32_e32 v168, v22, v168                              // 00000000874C: 0B515116
	v_mul_f32_e32 v169, v22, v169                              // 000000008750: 0B535316
	v_mul_f32_e32 v170, v22, v170                              // 000000008754: 0B555516
	v_mul_f32_e32 v171, v22, v171                              // 000000008758: 0B575716
	v_cvt_i32_f32_e32 v168, v168                               // 00000000875C: 7F5011A8
	v_cvt_i32_f32_e32 v169, v169                               // 000000008760: 7F5211A9
	v_cvt_i32_f32_e32 v170, v170                               // 000000008764: 7F5411AA
	v_cvt_i32_f32_e32 v171, v171                               // 000000008768: 7F5611AB
	v_perm_b32 v138, v169, v168, s53                           // 00000000876C: D1ED008A 00D751A9
	v_perm_b32 v138, v170, v138, s54                           // 000000008774: D1ED008A 00DB15AA
	v_perm_b32 v138, v171, v138, s55                           // 00000000877C: D1ED008A 00DF15AB
	v_mul_f32_e32 v172, v23, v172                              // 000000008784: 0B595917
	v_mul_f32_e32 v173, v23, v173                              // 000000008788: 0B5B5B17
	v_mul_f32_e32 v174, v23, v174                              // 00000000878C: 0B5D5D17
	v_mul_f32_e32 v175, v23, v175                              // 000000008790: 0B5F5F17
	v_cvt_i32_f32_e32 v172, v172                               // 000000008794: 7F5811AC
	v_cvt_i32_f32_e32 v173, v173                               // 000000008798: 7F5A11AD
	v_cvt_i32_f32_e32 v174, v174                               // 00000000879C: 7F5C11AE
	v_cvt_i32_f32_e32 v175, v175                               // 0000000087A0: 7F5E11AF
	v_perm_b32 v139, v173, v172, s53                           // 0000000087A4: D1ED008B 00D759AD
	v_perm_b32 v139, v174, v139, s54                           // 0000000087AC: D1ED008B 00DB17AE
	v_perm_b32 v139, v175, v139, s55                           // 0000000087B4: D1ED008B 00DF17AF
	v_rcp_f32_e32 v24, v22                                     // 0000000087BC: 7E304516
	v_rcp_f32_e32 v25, v23                                     // 0000000087C0: 7E324517
	v_lshrrev_b32_e32 v48, 5, v0                               // 0000000087C4: 20600085
	v_lshlrev_b32_e32 v49, 5, v48                              // 0000000087C8: 24626085
	v_and_b32_e32 v48, 31, v0                                  // 0000000087CC: 2660009F
	v_lshrrev_b32_e32 v50, 4, v48                              // 0000000087D0: 20646084
	v_add_u32_e32 v49, v50, v49                                // 0000000087D4: 68626332
	v_and_b32_e32 v48, 15, v0                                  // 0000000087D8: 2660008F
	v_lshlrev_b32_e32 v48, 1, v48                              // 0000000087DC: 24606081
	v_add_u32_e32 v49, v48, v49                                // 0000000087E0: 68626330
	v_lshlrev_b32_e32 v48, 2, v49                              // 0000000087E4: 24606282
	s_mul_i32 s60, 0x100, s7                                   // 0000000087E8: 923C07FF 00000100
	v_add_u32_e64 v48, v48, s60                                // 0000000087F0: D1340030 00007930
	ds_write_b32 v48, v128 offset:18688                        // 0000000087F8: D81A4900 00008030
	ds_write_b32 v48, v129 offset:24832                        // 000000008800: D81A6100 00008130
	ds_write_b32 v48, v130 offset:19712                        // 000000008808: D81A4D00 00008230
	ds_write_b32 v48, v131 offset:25856                        // 000000008810: D81A6500 00008330
	ds_write_b32 v48, v132 offset:20736                        // 000000008818: D81A5100 00008430
	ds_write_b32 v48, v133 offset:26880                        // 000000008820: D81A6900 00008530
	ds_write_b32 v48, v134 offset:21760                        // 000000008828: D81A5500 00008630
	ds_write_b32 v48, v135 offset:27904                        // 000000008830: D81A6D00 00008730
	ds_write_b32 v48, v136 offset:22784                        // 000000008838: D81A5900 00008830
	ds_write_b32 v48, v137 offset:28928                        // 000000008840: D81A7100 00008930
	ds_write_b32 v48, v138 offset:23808                        // 000000008848: D81A5D00 00008A30
	ds_write_b32 v48, v139 offset:29952                        // 000000008850: D81A7500 00008B30
	s_waitcnt lgkmcnt(0)                                       // 000000008858: BF8CC07F
	s_barrier                                                  // 00000000885C: BF8A0000
	v_lshrrev_b32_e32 v48, 4, v0                               // 000000008860: 20600084
	v_lshlrev_b32_e32 v49, 6, v48                              // 000000008864: 24626086
	v_and_b32_e32 v48, 15, v0                                  // 000000008868: 2660008F
	v_lshlrev_b32_e32 v48, 1, v48                              // 00000000886C: 24606081
	v_add_u32_e32 v49, v48, v49                                // 000000008870: 68626330
	v_lshlrev_b32_e32 v48, 2, v49                              // 000000008874: 24606282
	ds_read_b64 v[128:129], v48 offset:18688                   // 000000008878: D8EC4900 80000030
	ds_read_b64 v[130:131], v48 offset:18816                   // 000000008880: D8EC4980 82000030
	ds_read_b64 v[132:133], v48 offset:19712                   // 000000008888: D8EC4D00 84000030
	ds_read_b64 v[134:135], v48 offset:19840                   // 000000008890: D8EC4D80 86000030
	ds_read_b64 v[136:137], v48 offset:20736                   // 000000008898: D8EC5100 88000030
	ds_read_b64 v[138:139], v48 offset:20864                   // 0000000088A0: D8EC5180 8A000030
	ds_read_b64 v[140:141], v48 offset:21760                   // 0000000088A8: D8EC5500 8C000030
	ds_read_b64 v[142:143], v48 offset:21888                   // 0000000088B0: D8EC5580 8E000030
	ds_read_b64 v[144:145], v48 offset:22784                   // 0000000088B8: D8EC5900 90000030
	ds_read_b64 v[146:147], v48 offset:22912                   // 0000000088C0: D8EC5980 92000030
	ds_read_b64 v[148:149], v48 offset:23808                   // 0000000088C8: D8EC5D00 94000030
	ds_read_b64 v[150:151], v48 offset:23936                   // 0000000088D0: D8EC5D80 96000030
	ds_read_b64 v[152:153], v48 offset:24832                   // 0000000088D8: D8EC6100 98000030
	ds_read_b64 v[154:155], v48 offset:24960                   // 0000000088E0: D8EC6180 9A000030
	ds_read_b64 v[156:157], v48 offset:25856                   // 0000000088E8: D8EC6500 9C000030
	ds_read_b64 v[158:159], v48 offset:25984                   // 0000000088F0: D8EC6580 9E000030
	ds_read_b64 v[160:161], v48 offset:26880                   // 0000000088F8: D8EC6900 A0000030
	ds_read_b64 v[162:163], v48 offset:27008                   // 000000008900: D8EC6980 A2000030
	ds_read_b64 v[164:165], v48 offset:27904                   // 000000008908: D8EC6D00 A4000030
	ds_read_b64 v[166:167], v48 offset:28032                   // 000000008910: D8EC6D80 A6000030
	ds_read_b64 v[168:169], v48 offset:28928                   // 000000008918: D8EC7100 A8000030
	ds_read_b64 v[170:171], v48 offset:29056                   // 000000008920: D8EC7180 AA000030
	ds_read_b64 v[172:173], v48 offset:29952                   // 000000008928: D8EC7500 AC000030
	ds_read_b64 v[174:175], v48 offset:30080                   // 000000008930: D8EC7580 AE000030
	s_add_u32 s12, s56, s12                                    // 000000008938: 800C0C38
	s_addc_u32 s13, 0, s13                                     // 00000000893C: 820D0D80
	s_add_u32 s16, s79, s16                                    // 000000008940: 8010104F
	s_addc_u32 s17, 0, s17                                     // 000000008944: 82111180
	s_mov_b32 s80, 0                                           // 000000008948: BED00080
	s_waitcnt vmcnt(0) expcnt(0) lgkmcnt(0)                    // 00000000894C: BF8C0000

0000000000008950 <label_1794>:
	s_waitcnt vmcnt(37)                                        // 000000008950: BF8C8F75
	s_barrier                                                  // 000000008954: BF8A0000
	v_mfma_i32_16x16x32_i8 v[176:179], a[0:1], v[128:129], 0   // 000000008958: D3D700B0 0A030100
	buffer_load_dwordx4 a[96:99], v40, s[12:15], 0 offen       // 000000008960: E05C1000 80836028
	v_mfma_i32_16x16x32_i8 v[176:179], a[2:3], v[130:131], v[176:179]// 000000008968: D3D700B0 0EC30502
	v_mfma_i32_16x16x32_i8 v[180:183], a[0:1], v[152:153], 0   // 000000008970: D3D700B4 0A033100
	v_mfma_i32_16x16x32_i8 v[180:183], a[2:3], v[154:155], v[180:183]// 000000008978: D3D700B4 0ED33502
	v_mfma_i32_16x16x32_i8 v[184:187], a[4:5], v[128:129], 0   // 000000008980: D3D700B8 0A030104
	buffer_load_dwordx4 a[100:103], v41, s[12:15], 0 offen     // 000000008988: E05C1000 80836429
	v_mfma_i32_16x16x32_i8 v[184:187], a[6:7], v[130:131], v[184:187]// 000000008990: D3D700B8 0EE30506
	v_mfma_i32_16x16x32_i8 v[188:191], a[4:5], v[152:153], 0   // 000000008998: D3D700BC 0A033104
	v_mfma_i32_16x16x32_i8 v[188:191], a[6:7], v[154:155], v[188:191]// 0000000089A0: D3D700BC 0EF33506
	v_mfma_i32_16x16x32_i8 v[192:195], a[8:9], v[128:129], 0   // 0000000089A8: D3D700C0 0A030108
	buffer_load_dwordx4 a[104:107], v42, s[12:15], 0 offen     // 0000000089B0: E05C1000 8083682A
	v_mfma_i32_16x16x32_i8 v[192:195], a[10:11], v[130:131], v[192:195]// 0000000089B8: D3D700C0 0F03050A
	v_mfma_i32_16x16x32_i8 v[196:199], a[8:9], v[152:153], 0   // 0000000089C0: D3D700C4 0A033108
	v_mfma_i32_16x16x32_i8 v[196:199], a[10:11], v[154:155], v[196:199]// 0000000089C8: D3D700C4 0F13350A
	v_mfma_i32_16x16x32_i8 v[200:203], a[12:13], v[128:129], 0 // 0000000089D0: D3D700C8 0A03010C
	buffer_load_dwordx4 a[108:111], v43, s[12:15], 0 offen     // 0000000089D8: E05C1000 80836C2B
	s_add_u32 s12, s78, s12                                    // 0000000089E0: 800C0C4E
	s_addc_u32 s13, 0, s13                                     // 0000000089E4: 820D0D80
	v_mfma_i32_16x16x32_i8 v[200:203], a[14:15], v[130:131], v[200:203]// 0000000089E8: D3D700C8 0F23050E
	v_mfma_i32_16x16x32_i8 v[204:207], a[12:13], v[152:153], 0 // 0000000089F0: D3D700CC 0A03310C
	v_mfma_i32_16x16x32_i8 v[204:207], a[14:15], v[154:155], v[204:207]// 0000000089F8: D3D700CC 0F33350E
	s_waitcnt vmcnt(37)                                        // 000000008A00: BF8C8F75
	v_mfma_i32_16x16x32_i8 v[176:179], a[16:17], v[132:133], v[176:179]// 000000008A04: D3D700B0 0EC30910
	buffer_load_dwordx4 a[112:115], v40, s[12:15], 0 offen     // 000000008A0C: E05C1000 80837028
	v_mfma_i32_16x16x32_i8 v[176:179], a[18:19], v[134:135], v[176:179]// 000000008A14: D3D700B0 0EC30D12
	v_mfma_i32_16x16x32_i8 v[180:183], a[16:17], v[156:157], v[180:183]// 000000008A1C: D3D700B4 0ED33910
	v_mfma_i32_16x16x32_i8 v[180:183], a[18:19], v[158:159], v[180:183]// 000000008A24: D3D700B4 0ED33D12
	v_mfma_i32_16x16x32_i8 v[184:187], a[20:21], v[132:133], v[184:187]// 000000008A2C: D3D700B8 0EE30914
	buffer_load_dwordx4 a[116:119], v41, s[12:15], 0 offen     // 000000008A34: E05C1000 80837429
	v_mfma_i32_16x16x32_i8 v[184:187], a[22:23], v[134:135], v[184:187]// 000000008A3C: D3D700B8 0EE30D16
	v_mfma_i32_16x16x32_i8 v[188:191], a[20:21], v[156:157], v[188:191]// 000000008A44: D3D700BC 0EF33914
	v_mfma_i32_16x16x32_i8 v[188:191], a[22:23], v[158:159], v[188:191]// 000000008A4C: D3D700BC 0EF33D16
	v_mfma_i32_16x16x32_i8 v[192:195], a[24:25], v[132:133], v[192:195]// 000000008A54: D3D700C0 0F030918
	buffer_load_dwordx4 a[120:123], v42, s[12:15], 0 offen     // 000000008A5C: E05C1000 8083782A
	v_mfma_i32_16x16x32_i8 v[192:195], a[26:27], v[134:135], v[192:195]// 000000008A64: D3D700C0 0F030D1A
	v_mfma_i32_16x16x32_i8 v[196:199], a[24:25], v[156:157], v[196:199]// 000000008A6C: D3D700C4 0F133918
	v_mfma_i32_16x16x32_i8 v[196:199], a[26:27], v[158:159], v[196:199]// 000000008A74: D3D700C4 0F133D1A
	v_mfma_i32_16x16x32_i8 v[200:203], a[28:29], v[132:133], v[200:203]// 000000008A7C: D3D700C8 0F23091C
	buffer_load_dwordx4 a[124:127], v43, s[12:15], 0 offen     // 000000008A84: E05C1000 80837C2B
	s_add_u32 s12, s78, s12                                    // 000000008A8C: 800C0C4E
	s_addc_u32 s13, 0, s13                                     // 000000008A90: 820D0D80
	v_mfma_i32_16x16x32_i8 v[200:203], a[30:31], v[134:135], v[200:203]// 000000008A94: D3D700C8 0F230D1E
	v_mfma_i32_16x16x32_i8 v[204:207], a[28:29], v[156:157], v[204:207]// 000000008A9C: D3D700CC 0F33391C
	v_mfma_i32_16x16x32_i8 v[204:207], a[30:31], v[158:159], v[204:207]// 000000008AA4: D3D700CC 0F333D1E
	s_waitcnt vmcnt(37)                                        // 000000008AAC: BF8C8F75
	v_mfma_i32_16x16x32_i8 v[176:179], a[32:33], v[136:137], v[176:179]// 000000008AB0: D3D700B0 0EC31120
	buffer_load_dwordx4 a[128:131], v40, s[12:15], 0 offen     // 000000008AB8: E05C1000 80838028
	v_mfma_i32_16x16x32_i8 v[176:179], a[34:35], v[138:139], v[176:179]// 000000008AC0: D3D700B0 0EC31522
	v_mfma_i32_16x16x32_i8 v[180:183], a[32:33], v[160:161], v[180:183]// 000000008AC8: D3D700B4 0ED34120
	v_mfma_i32_16x16x32_i8 v[180:183], a[34:35], v[162:163], v[180:183]// 000000008AD0: D3D700B4 0ED34522
	v_mfma_i32_16x16x32_i8 v[184:187], a[36:37], v[136:137], v[184:187]// 000000008AD8: D3D700B8 0EE31124
	buffer_load_dwordx4 a[132:135], v41, s[12:15], 0 offen     // 000000008AE0: E05C1000 80838429
	v_mfma_i32_16x16x32_i8 v[184:187], a[38:39], v[138:139], v[184:187]// 000000008AE8: D3D700B8 0EE31526
	v_mfma_i32_16x16x32_i8 v[188:191], a[36:37], v[160:161], v[188:191]// 000000008AF0: D3D700BC 0EF34124
	v_mfma_i32_16x16x32_i8 v[188:191], a[38:39], v[162:163], v[188:191]// 000000008AF8: D3D700BC 0EF34526
	v_mfma_i32_16x16x32_i8 v[192:195], a[40:41], v[136:137], v[192:195]// 000000008B00: D3D700C0 0F031128
	buffer_load_dwordx4 a[136:139], v42, s[12:15], 0 offen     // 000000008B08: E05C1000 8083882A
	v_mfma_i32_16x16x32_i8 v[192:195], a[42:43], v[138:139], v[192:195]// 000000008B10: D3D700C0 0F03152A
	v_mfma_i32_16x16x32_i8 v[196:199], a[40:41], v[160:161], v[196:199]// 000000008B18: D3D700C4 0F134128
	v_mfma_i32_16x16x32_i8 v[196:199], a[42:43], v[162:163], v[196:199]// 000000008B20: D3D700C4 0F13452A
	v_mfma_i32_16x16x32_i8 v[200:203], a[44:45], v[136:137], v[200:203]// 000000008B28: D3D700C8 0F23112C
	buffer_load_dwordx4 a[140:143], v43, s[12:15], 0 offen     // 000000008B30: E05C1000 80838C2B
	s_add_u32 s12, s78, s12                                    // 000000008B38: 800C0C4E
	s_addc_u32 s13, 0, s13                                     // 000000008B3C: 820D0D80
	v_mfma_i32_16x16x32_i8 v[200:203], a[46:47], v[138:139], v[200:203]// 000000008B40: D3D700C8 0F23152E
	v_mfma_i32_16x16x32_i8 v[204:207], a[44:45], v[160:161], v[204:207]// 000000008B48: D3D700CC 0F33412C
	v_mfma_i32_16x16x32_i8 v[204:207], a[46:47], v[162:163], v[204:207]// 000000008B50: D3D700CC 0F33452E
	s_waitcnt vmcnt(37)                                        // 000000008B58: BF8C8F75
	v_mfma_i32_16x16x32_i8 v[176:179], a[48:49], v[140:141], v[176:179]// 000000008B5C: D3D700B0 0EC31930
	buffer_load_dwordx4 a[144:147], v40, s[12:15], 0 offen     // 000000008B64: E05C1000 80839028
	v_mfma_i32_16x16x32_i8 v[176:179], a[50:51], v[142:143], v[176:179]// 000000008B6C: D3D700B0 0EC31D32
	v_mfma_i32_16x16x32_i8 v[180:183], a[48:49], v[164:165], v[180:183]// 000000008B74: D3D700B4 0ED34930
	v_mfma_i32_16x16x32_i8 v[180:183], a[50:51], v[166:167], v[180:183]// 000000008B7C: D3D700B4 0ED34D32
	v_mfma_i32_16x16x32_i8 v[184:187], a[52:53], v[140:141], v[184:187]// 000000008B84: D3D700B8 0EE31934
	buffer_load_dwordx4 a[148:151], v41, s[12:15], 0 offen     // 000000008B8C: E05C1000 80839429
	v_mfma_i32_16x16x32_i8 v[184:187], a[54:55], v[142:143], v[184:187]// 000000008B94: D3D700B8 0EE31D36
	v_mfma_i32_16x16x32_i8 v[188:191], a[52:53], v[164:165], v[188:191]// 000000008B9C: D3D700BC 0EF34934
	v_mfma_i32_16x16x32_i8 v[188:191], a[54:55], v[166:167], v[188:191]// 000000008BA4: D3D700BC 0EF34D36
	v_mfma_i32_16x16x32_i8 v[192:195], a[56:57], v[140:141], v[192:195]// 000000008BAC: D3D700C0 0F031938
	buffer_load_dwordx4 a[152:155], v42, s[12:15], 0 offen     // 000000008BB4: E05C1000 8083982A
	v_mfma_i32_16x16x32_i8 v[192:195], a[58:59], v[142:143], v[192:195]// 000000008BBC: D3D700C0 0F031D3A
	v_mfma_i32_16x16x32_i8 v[196:199], a[56:57], v[164:165], v[196:199]// 000000008BC4: D3D700C4 0F134938
	v_mfma_i32_16x16x32_i8 v[196:199], a[58:59], v[166:167], v[196:199]// 000000008BCC: D3D700C4 0F134D3A
	v_mfma_i32_16x16x32_i8 v[200:203], a[60:61], v[140:141], v[200:203]// 000000008BD4: D3D700C8 0F23193C
	buffer_load_dwordx4 a[156:159], v43, s[12:15], 0 offen     // 000000008BDC: E05C1000 80839C2B
	s_add_u32 s12, s78, s12                                    // 000000008BE4: 800C0C4E
	s_addc_u32 s13, 0, s13                                     // 000000008BE8: 820D0D80
	v_mfma_i32_16x16x32_i8 v[200:203], a[62:63], v[142:143], v[200:203]// 000000008BEC: D3D700C8 0F231D3E
	v_mfma_i32_16x16x32_i8 v[204:207], a[60:61], v[164:165], v[204:207]// 000000008BF4: D3D700CC 0F33493C
	v_mfma_i32_16x16x32_i8 v[204:207], a[62:63], v[166:167], v[204:207]// 000000008BFC: D3D700CC 0F334D3E
	s_waitcnt vmcnt(37)                                        // 000000008C04: BF8C8F75
	v_mfma_i32_16x16x32_i8 v[176:179], a[64:65], v[144:145], v[176:179]// 000000008C08: D3D700B0 0EC32140
	buffer_load_dwordx4 a[160:163], v40, s[12:15], 0 offen     // 000000008C10: E05C1000 8083A028
	v_mfma_i32_16x16x32_i8 v[176:179], a[66:67], v[146:147], v[176:179]// 000000008C18: D3D700B0 0EC32542
	v_mfma_i32_16x16x32_i8 v[180:183], a[64:65], v[168:169], v[180:183]// 000000008C20: D3D700B4 0ED35140
	v_mfma_i32_16x16x32_i8 v[180:183], a[66:67], v[170:171], v[180:183]// 000000008C28: D3D700B4 0ED35542
	v_mfma_i32_16x16x32_i8 v[184:187], a[68:69], v[144:145], v[184:187]// 000000008C30: D3D700B8 0EE32144
	buffer_load_dwordx4 a[164:167], v41, s[12:15], 0 offen     // 000000008C38: E05C1000 8083A429
	v_mfma_i32_16x16x32_i8 v[184:187], a[70:71], v[146:147], v[184:187]// 000000008C40: D3D700B8 0EE32546
	v_mfma_i32_16x16x32_i8 v[188:191], a[68:69], v[168:169], v[188:191]// 000000008C48: D3D700BC 0EF35144
	v_mfma_i32_16x16x32_i8 v[188:191], a[70:71], v[170:171], v[188:191]// 000000008C50: D3D700BC 0EF35546
	v_mfma_i32_16x16x32_i8 v[192:195], a[72:73], v[144:145], v[192:195]// 000000008C58: D3D700C0 0F032148
	buffer_load_dwordx4 a[168:171], v42, s[12:15], 0 offen     // 000000008C60: E05C1000 8083A82A
	v_mfma_i32_16x16x32_i8 v[192:195], a[74:75], v[146:147], v[192:195]// 000000008C68: D3D700C0 0F03254A
	v_mfma_i32_16x16x32_i8 v[196:199], a[72:73], v[168:169], v[196:199]// 000000008C70: D3D700C4 0F135148
	v_mfma_i32_16x16x32_i8 v[196:199], a[74:75], v[170:171], v[196:199]// 000000008C78: D3D700C4 0F13554A
	v_mfma_i32_16x16x32_i8 v[200:203], a[76:77], v[144:145], v[200:203]// 000000008C80: D3D700C8 0F23214C
	buffer_load_dwordx4 a[172:175], v43, s[12:15], 0 offen     // 000000008C88: E05C1000 8083AC2B
	s_add_u32 s12, s78, s12                                    // 000000008C90: 800C0C4E
	s_addc_u32 s13, 0, s13                                     // 000000008C94: 820D0D80
	v_mfma_i32_16x16x32_i8 v[200:203], a[78:79], v[146:147], v[200:203]// 000000008C98: D3D700C8 0F23254E
	v_mfma_i32_16x16x32_i8 v[204:207], a[76:77], v[168:169], v[204:207]// 000000008CA0: D3D700CC 0F33514C
	v_mfma_i32_16x16x32_i8 v[204:207], a[78:79], v[170:171], v[204:207]// 000000008CA8: D3D700CC 0F33554E
	s_waitcnt vmcnt(36)                                        // 000000008CB0: BF8C8F74
	v_mfma_i32_16x16x32_i8 v[176:179], a[80:81], v[148:149], v[176:179]// 000000008CB4: D3D700B0 0EC32950
	buffer_load_dwordx4 a[176:179], v40, s[12:15], 0 offen     // 000000008CBC: E05C1000 8083B028
	v_mfma_i32_16x16x32_i8 v[176:179], a[82:83], v[150:151], v[176:179]// 000000008CC4: D3D700B0 0EC32D52
	v_mfma_i32_16x16x32_i8 v[180:183], a[80:81], v[172:173], v[180:183]// 000000008CCC: D3D700B4 0ED35950
	buffer_load_dword v13, v5, s[16:19], 0 offen               // 000000008CD4: E0501000 80040D05
	v_mfma_i32_16x16x32_i8 v[180:183], a[82:83], v[174:175], v[180:183]// 000000008CDC: D3D700B4 0ED35D52
	v_mfma_i32_16x16x32_i8 v[184:187], a[84:85], v[148:149], v[184:187]// 000000008CE4: D3D700B8 0EE32954
	buffer_load_dwordx4 a[180:183], v41, s[12:15], 0 offen     // 000000008CEC: E05C1000 8083B429
	v_mfma_i32_16x16x32_i8 v[184:187], a[86:87], v[150:151], v[184:187]// 000000008CF4: D3D700B8 0EE32D56
	v_mfma_i32_16x16x32_i8 v[188:191], a[84:85], v[172:173], v[188:191]// 000000008CFC: D3D700BC 0EF35954
	v_mfma_i32_16x16x32_i8 v[188:191], a[86:87], v[174:175], v[188:191]// 000000008D04: D3D700BC 0EF35D56
	v_mfma_i32_16x16x32_i8 v[192:195], a[88:89], v[148:149], v[192:195]// 000000008D0C: D3D700C0 0F032958
	buffer_load_dwordx4 a[184:187], v42, s[12:15], 0 offen     // 000000008D14: E05C1000 8083B82A
	v_mfma_i32_16x16x32_i8 v[192:195], a[90:91], v[150:151], v[192:195]// 000000008D1C: D3D700C0 0F032D5A
	v_mfma_i32_16x16x32_i8 v[196:199], a[88:89], v[172:173], v[196:199]// 000000008D24: D3D700C4 0F135958
	v_mfma_i32_16x16x32_i8 v[196:199], a[90:91], v[174:175], v[196:199]// 000000008D2C: D3D700C4 0F135D5A
	v_mfma_i32_16x16x32_i8 v[200:203], a[92:93], v[148:149], v[200:203]// 000000008D34: D3D700C8 0F23295C
	buffer_load_dwordx4 a[188:191], v43, s[12:15], 0 offen     // 000000008D3C: E05C1000 8083BC2B
	v_mfma_i32_16x16x32_i8 v[200:203], a[94:95], v[150:151], v[200:203]// 000000008D44: D3D700C8 0F232D5E
	v_mfma_i32_16x16x32_i8 v[204:207], a[92:93], v[172:173], v[204:207]// 000000008D4C: D3D700CC 0F33595C
	v_mfma_i32_16x16x32_i8 v[204:207], a[94:95], v[174:175], v[204:207]// 000000008D54: D3D700CC 0F335D5E
	s_add_u32 s60, 0x200, s80                                  // 000000008D5C: 803C50FF 00000200
	s_cmp_lt_u32 s60, s81                                      // 000000008D64: BF0A513C
	s_cselect_b32 s56, s56, 0                                  // 000000008D68: 85388038
	s_cselect_b32 s78, s78, 0                                  // 000000008D6C: 854E804E
	s_cselect_b32 s79, s79, 0                                  // 000000008D70: 854F804F
	s_add_u32 s12, s56, s12                                    // 000000008D74: 800C0C38
	s_addc_u32 s13, 0, s13                                     // 000000008D78: 820D0D80
	s_add_u32 s16, s79, s16                                    // 000000008D7C: 8010104F
	s_addc_u32 s17, 0, s17                                     // 000000008D80: 82111180
	v_cvt_f32_i32_e32 v176, v176                               // 000000008D84: 7F600BB0
	v_cvt_f32_i32_e32 v177, v177                               // 000000008D88: 7F620BB1
	v_cvt_f32_i32_e32 v178, v178                               // 000000008D8C: 7F640BB2
	v_cvt_f32_i32_e32 v179, v179                               // 000000008D90: 7F660BB3
	v_mul_f32_e32 v176, v24, v176                              // 000000008D94: 0B616118
	v_mul_f32_e32 v177, v24, v177                              // 000000008D98: 0B636318
	v_mul_f32_e32 v178, v24, v178                              // 000000008D9C: 0B656518
	v_mul_f32_e32 v179, v24, v179                              // 000000008DA0: 0B676718
	v_mul_f32_dpp v176, v12, v176 row_newbcast:0 row_mask:0xf bank_mask:0xf// 000000008DA4: 0B6160FA FF01500C
	v_mul_f32_dpp v177, v12, v177 row_newbcast:1 row_mask:0xf bank_mask:0xf// 000000008DAC: 0B6362FA FF01510C
	v_mul_f32_dpp v178, v12, v178 row_newbcast:2 row_mask:0xf bank_mask:0xf// 000000008DB4: 0B6564FA FF01520C
	v_mul_f32_dpp v179, v12, v179 row_newbcast:3 row_mask:0xf bank_mask:0xf// 000000008DBC: 0B6766FA FF01530C
	v_mul_f32_e32 v176, v20, v176                              // 000000008DC4: 0B616114
	v_mul_f32_e32 v177, v20, v177                              // 000000008DC8: 0B636314
	v_mul_f32_e32 v178, v20, v178                              // 000000008DCC: 0B656514
	v_mul_f32_e32 v179, v20, v179                              // 000000008DD0: 0B676714
	v_cvt_f32_i32_e32 v180, v180                               // 000000008DD4: 7F680BB4
	v_cvt_f32_i32_e32 v181, v181                               // 000000008DD8: 7F6A0BB5
	v_cvt_f32_i32_e32 v182, v182                               // 000000008DDC: 7F6C0BB6
	v_cvt_f32_i32_e32 v183, v183                               // 000000008DE0: 7F6E0BB7
	v_mul_f32_e32 v180, v25, v180                              // 000000008DE4: 0B696919
	v_mul_f32_e32 v181, v25, v181                              // 000000008DE8: 0B6B6B19
	v_mul_f32_e32 v182, v25, v182                              // 000000008DEC: 0B6D6D19
	v_mul_f32_e32 v183, v25, v183                              // 000000008DF0: 0B6F6F19
	v_mul_f32_dpp v180, v12, v180 row_newbcast:0 row_mask:0xf bank_mask:0xf// 000000008DF4: 0B6968FA FF01500C
	v_mul_f32_dpp v181, v12, v181 row_newbcast:1 row_mask:0xf bank_mask:0xf// 000000008DFC: 0B6B6AFA FF01510C
	v_mul_f32_dpp v182, v12, v182 row_newbcast:2 row_mask:0xf bank_mask:0xf// 000000008E04: 0B6D6CFA FF01520C
	v_mul_f32_dpp v183, v12, v183 row_newbcast:3 row_mask:0xf bank_mask:0xf// 000000008E0C: 0B6F6EFA FF01530C
	v_mul_f32_e32 v180, v21, v180                              // 000000008E14: 0B696915
	v_mul_f32_e32 v181, v21, v181                              // 000000008E18: 0B6B6B15
	v_mul_f32_e32 v182, v21, v182                              // 000000008E1C: 0B6D6D15
	v_mul_f32_e32 v183, v21, v183                              // 000000008E20: 0B6F6F15
	v_cvt_f32_i32_e32 v184, v184                               // 000000008E24: 7F700BB8
	v_cvt_f32_i32_e32 v185, v185                               // 000000008E28: 7F720BB9
	v_cvt_f32_i32_e32 v186, v186                               // 000000008E2C: 7F740BBA
	v_cvt_f32_i32_e32 v187, v187                               // 000000008E30: 7F760BBB
	v_mul_f32_e32 v184, v24, v184                              // 000000008E34: 0B717118
	v_mul_f32_e32 v185, v24, v185                              // 000000008E38: 0B737318
	v_mul_f32_e32 v186, v24, v186                              // 000000008E3C: 0B757518
	v_mul_f32_e32 v187, v24, v187                              // 000000008E40: 0B777718
	v_mul_f32_dpp v184, v12, v184 row_newbcast:4 row_mask:0xf bank_mask:0xf// 000000008E44: 0B7170FA FF01540C
	v_mul_f32_dpp v185, v12, v185 row_newbcast:5 row_mask:0xf bank_mask:0xf// 000000008E4C: 0B7372FA FF01550C
	v_mul_f32_dpp v186, v12, v186 row_newbcast:6 row_mask:0xf bank_mask:0xf// 000000008E54: 0B7574FA FF01560C
	v_mul_f32_dpp v187, v12, v187 row_newbcast:7 row_mask:0xf bank_mask:0xf// 000000008E5C: 0B7776FA FF01570C
	v_mul_f32_e32 v184, v20, v184                              // 000000008E64: 0B717114
	v_mul_f32_e32 v185, v20, v185                              // 000000008E68: 0B737314
	v_mul_f32_e32 v186, v20, v186                              // 000000008E6C: 0B757514
	v_mul_f32_e32 v187, v20, v187                              // 000000008E70: 0B777714
	v_cvt_f32_i32_e32 v188, v188                               // 000000008E74: 7F780BBC
	v_cvt_f32_i32_e32 v189, v189                               // 000000008E78: 7F7A0BBD
	v_cvt_f32_i32_e32 v190, v190                               // 000000008E7C: 7F7C0BBE
	v_cvt_f32_i32_e32 v191, v191                               // 000000008E80: 7F7E0BBF
	v_mul_f32_e32 v188, v25, v188                              // 000000008E84: 0B797919
	v_mul_f32_e32 v189, v25, v189                              // 000000008E88: 0B7B7B19
	v_mul_f32_e32 v190, v25, v190                              // 000000008E8C: 0B7D7D19
	v_mul_f32_e32 v191, v25, v191                              // 000000008E90: 0B7F7F19
	v_mul_f32_dpp v188, v12, v188 row_newbcast:4 row_mask:0xf bank_mask:0xf// 000000008E94: 0B7978FA FF01540C
	v_mul_f32_dpp v189, v12, v189 row_newbcast:5 row_mask:0xf bank_mask:0xf// 000000008E9C: 0B7B7AFA FF01550C
	v_mul_f32_dpp v190, v12, v190 row_newbcast:6 row_mask:0xf bank_mask:0xf// 000000008EA4: 0B7D7CFA FF01560C
	v_mul_f32_dpp v191, v12, v191 row_newbcast:7 row_mask:0xf bank_mask:0xf// 000000008EAC: 0B7F7EFA FF01570C
	v_mul_f32_e32 v188, v21, v188                              // 000000008EB4: 0B797915
	v_mul_f32_e32 v189, v21, v189                              // 000000008EB8: 0B7B7B15
	v_mul_f32_e32 v190, v21, v190                              // 000000008EBC: 0B7D7D15
	v_mul_f32_e32 v191, v21, v191                              // 000000008EC0: 0B7F7F15
	v_cvt_f32_i32_e32 v192, v192                               // 000000008EC4: 7F800BC0
	v_cvt_f32_i32_e32 v193, v193                               // 000000008EC8: 7F820BC1
	v_cvt_f32_i32_e32 v194, v194                               // 000000008ECC: 7F840BC2
	v_cvt_f32_i32_e32 v195, v195                               // 000000008ED0: 7F860BC3
	v_mul_f32_e32 v192, v24, v192                              // 000000008ED4: 0B818118
	v_mul_f32_e32 v193, v24, v193                              // 000000008ED8: 0B838318
	v_mul_f32_e32 v194, v24, v194                              // 000000008EDC: 0B858518
	v_mul_f32_e32 v195, v24, v195                              // 000000008EE0: 0B878718
	v_mul_f32_dpp v192, v12, v192 row_newbcast:8 row_mask:0xf bank_mask:0xf// 000000008EE4: 0B8180FA FF01580C
	v_mul_f32_dpp v193, v12, v193 row_newbcast:9 row_mask:0xf bank_mask:0xf// 000000008EEC: 0B8382FA FF01590C
	v_mul_f32_dpp v194, v12, v194 row_newbcast:10 row_mask:0xf bank_mask:0xf// 000000008EF4: 0B8584FA FF015A0C
	v_mul_f32_dpp v195, v12, v195 row_newbcast:11 row_mask:0xf bank_mask:0xf// 000000008EFC: 0B8786FA FF015B0C
	v_mul_f32_e32 v192, v20, v192                              // 000000008F04: 0B818114
	v_mul_f32_e32 v193, v20, v193                              // 000000008F08: 0B838314
	v_mul_f32_e32 v194, v20, v194                              // 000000008F0C: 0B858514
	v_mul_f32_e32 v195, v20, v195                              // 000000008F10: 0B878714
	v_cvt_f32_i32_e32 v196, v196                               // 000000008F14: 7F880BC4
	v_cvt_f32_i32_e32 v197, v197                               // 000000008F18: 7F8A0BC5
	v_cvt_f32_i32_e32 v198, v198                               // 000000008F1C: 7F8C0BC6
	v_cvt_f32_i32_e32 v199, v199                               // 000000008F20: 7F8E0BC7
	v_mul_f32_e32 v196, v25, v196                              // 000000008F24: 0B898919
	v_mul_f32_e32 v197, v25, v197                              // 000000008F28: 0B8B8B19
	v_mul_f32_e32 v198, v25, v198                              // 000000008F2C: 0B8D8D19
	v_mul_f32_e32 v199, v25, v199                              // 000000008F30: 0B8F8F19
	v_mul_f32_dpp v196, v12, v196 row_newbcast:8 row_mask:0xf bank_mask:0xf// 000000008F34: 0B8988FA FF01580C
	v_mul_f32_dpp v197, v12, v197 row_newbcast:9 row_mask:0xf bank_mask:0xf// 000000008F3C: 0B8B8AFA FF01590C
	v_mul_f32_dpp v198, v12, v198 row_newbcast:10 row_mask:0xf bank_mask:0xf// 000000008F44: 0B8D8CFA FF015A0C
	v_mul_f32_dpp v199, v12, v199 row_newbcast:11 row_mask:0xf bank_mask:0xf// 000000008F4C: 0B8F8EFA FF015B0C
	v_mul_f32_e32 v196, v21, v196                              // 000000008F54: 0B898915
	v_mul_f32_e32 v197, v21, v197                              // 000000008F58: 0B8B8B15
	v_mul_f32_e32 v198, v21, v198                              // 000000008F5C: 0B8D8D15
	v_mul_f32_e32 v199, v21, v199                              // 000000008F60: 0B8F8F15
	v_cvt_f32_i32_e32 v200, v200                               // 000000008F64: 7F900BC8
	v_cvt_f32_i32_e32 v201, v201                               // 000000008F68: 7F920BC9
	v_cvt_f32_i32_e32 v202, v202                               // 000000008F6C: 7F940BCA
	v_cvt_f32_i32_e32 v203, v203                               // 000000008F70: 7F960BCB
	v_mul_f32_e32 v200, v24, v200                              // 000000008F74: 0B919118
	v_mul_f32_e32 v201, v24, v201                              // 000000008F78: 0B939318
	v_mul_f32_e32 v202, v24, v202                              // 000000008F7C: 0B959518
	v_mul_f32_e32 v203, v24, v203                              // 000000008F80: 0B979718
	v_mul_f32_dpp v200, v12, v200 row_newbcast:12 row_mask:0xf bank_mask:0xf// 000000008F84: 0B9190FA FF015C0C
	v_mul_f32_dpp v201, v12, v201 row_newbcast:13 row_mask:0xf bank_mask:0xf// 000000008F8C: 0B9392FA FF015D0C
	v_mul_f32_dpp v202, v12, v202 row_newbcast:14 row_mask:0xf bank_mask:0xf// 000000008F94: 0B9594FA FF015E0C
	v_mul_f32_dpp v203, v12, v203 row_newbcast:15 row_mask:0xf bank_mask:0xf// 000000008F9C: 0B9796FA FF015F0C
	v_mul_f32_e32 v200, v20, v200                              // 000000008FA4: 0B919114
	v_mul_f32_e32 v201, v20, v201                              // 000000008FA8: 0B939314
	v_mul_f32_e32 v202, v20, v202                              // 000000008FAC: 0B959514
	v_mul_f32_e32 v203, v20, v203                              // 000000008FB0: 0B979714
	v_cvt_f32_i32_e32 v204, v204                               // 000000008FB4: 7F980BCC
	v_cvt_f32_i32_e32 v205, v205                               // 000000008FB8: 7F9A0BCD
	v_cvt_f32_i32_e32 v206, v206                               // 000000008FBC: 7F9C0BCE
	v_cvt_f32_i32_e32 v207, v207                               // 000000008FC0: 7F9E0BCF
	v_mul_f32_e32 v204, v25, v204                              // 000000008FC4: 0B999919
	v_mul_f32_e32 v205, v25, v205                              // 000000008FC8: 0B9B9B19
	v_mul_f32_e32 v206, v25, v206                              // 000000008FCC: 0B9D9D19
	v_mul_f32_e32 v207, v25, v207                              // 000000008FD0: 0B9F9F19
	v_mul_f32_dpp v204, v12, v204 row_newbcast:12 row_mask:0xf bank_mask:0xf// 000000008FD4: 0B9998FA FF015C0C
	v_mul_f32_dpp v205, v12, v205 row_newbcast:13 row_mask:0xf bank_mask:0xf// 000000008FDC: 0B9B9AFA FF015D0C
	v_mul_f32_dpp v206, v12, v206 row_newbcast:14 row_mask:0xf bank_mask:0xf// 000000008FE4: 0B9D9CFA FF015E0C
	v_mul_f32_dpp v207, v12, v207 row_newbcast:15 row_mask:0xf bank_mask:0xf// 000000008FEC: 0B9F9EFA FF015F0C
	v_mul_f32_e32 v204, v21, v204                              // 000000008FF4: 0B999915
	v_mul_f32_e32 v205, v21, v205                              // 000000008FF8: 0B9B9B15
	v_mul_f32_e32 v206, v21, v206                              // 000000008FFC: 0B9D9D15
	v_mul_f32_e32 v207, v21, v207                              // 000000009000: 0B9F9F15
	v_cmp_u_f32_e64 s[48:49], v176, v176                       // 000000009004: D0480030 000361B0
	v_add3_u32 v44, v176, v47, 1                               // 00000000900C: D1FF002C 02065FB0
	v_cndmask_b32_e64 v48, v44, v46, s[48:49]                  // 000000009014: D1000030 00C25D2C
	v_cmp_u_f32_e64 s[48:49], v177, v177                       // 00000000901C: D0480030 000363B1
	v_add3_u32 v44, v177, v47, 1                               // 000000009024: D1FF002C 02065FB1
	v_cndmask_b32_e64 v49, v44, v46, s[48:49]                  // 00000000902C: D1000031 00C25D2C
	v_perm_b32 v176, v49, v48, s52                             // 000000009034: D1ED00B0 00D26131
	v_cmp_u_f32_e64 s[48:49], v178, v178                       // 00000000903C: D0480030 000365B2
	v_add3_u32 v44, v178, v47, 1                               // 000000009044: D1FF002C 02065FB2
	v_cndmask_b32_e64 v48, v44, v46, s[48:49]                  // 00000000904C: D1000030 00C25D2C
	v_cmp_u_f32_e64 s[48:49], v179, v179                       // 000000009054: D0480030 000367B3
	v_add3_u32 v44, v179, v47, 1                               // 00000000905C: D1FF002C 02065FB3
	v_cndmask_b32_e64 v49, v44, v46, s[48:49]                  // 000000009064: D1000031 00C25D2C
	v_perm_b32 v177, v49, v48, s52                             // 00000000906C: D1ED00B1 00D26131
	v_cmp_u_f32_e64 s[48:49], v180, v180                       // 000000009074: D0480030 000369B4
	v_add3_u32 v44, v180, v47, 1                               // 00000000907C: D1FF002C 02065FB4
	v_cndmask_b32_e64 v48, v44, v46, s[48:49]                  // 000000009084: D1000030 00C25D2C
	v_cmp_u_f32_e64 s[48:49], v181, v181                       // 00000000908C: D0480030 00036BB5
	v_add3_u32 v44, v181, v47, 1                               // 000000009094: D1FF002C 02065FB5
	v_cndmask_b32_e64 v49, v44, v46, s[48:49]                  // 00000000909C: D1000031 00C25D2C
	v_perm_b32 v178, v49, v48, s52                             // 0000000090A4: D1ED00B2 00D26131
	v_cmp_u_f32_e64 s[48:49], v182, v182                       // 0000000090AC: D0480030 00036DB6
	v_add3_u32 v44, v182, v47, 1                               // 0000000090B4: D1FF002C 02065FB6
	v_cndmask_b32_e64 v48, v44, v46, s[48:49]                  // 0000000090BC: D1000030 00C25D2C
	v_cmp_u_f32_e64 s[48:49], v183, v183                       // 0000000090C4: D0480030 00036FB7
	v_add3_u32 v44, v183, v47, 1                               // 0000000090CC: D1FF002C 02065FB7
	v_cndmask_b32_e64 v49, v44, v46, s[48:49]                  // 0000000090D4: D1000031 00C25D2C
	v_perm_b32 v179, v49, v48, s52                             // 0000000090DC: D1ED00B3 00D26131
	v_cmp_u_f32_e64 s[48:49], v184, v184                       // 0000000090E4: D0480030 000371B8
	v_add3_u32 v44, v184, v47, 1                               // 0000000090EC: D1FF002C 02065FB8
	v_cndmask_b32_e64 v48, v44, v46, s[48:49]                  // 0000000090F4: D1000030 00C25D2C
	v_cmp_u_f32_e64 s[48:49], v185, v185                       // 0000000090FC: D0480030 000373B9
	v_add3_u32 v44, v185, v47, 1                               // 000000009104: D1FF002C 02065FB9
	v_cndmask_b32_e64 v49, v44, v46, s[48:49]                  // 00000000910C: D1000031 00C25D2C
	v_perm_b32 v180, v49, v48, s52                             // 000000009114: D1ED00B4 00D26131
	v_cmp_u_f32_e64 s[48:49], v186, v186                       // 00000000911C: D0480030 000375BA
	v_add3_u32 v44, v186, v47, 1                               // 000000009124: D1FF002C 02065FBA
	v_cndmask_b32_e64 v48, v44, v46, s[48:49]                  // 00000000912C: D1000030 00C25D2C
	v_cmp_u_f32_e64 s[48:49], v187, v187                       // 000000009134: D0480030 000377BB
	v_add3_u32 v44, v187, v47, 1                               // 00000000913C: D1FF002C 02065FBB
	v_cndmask_b32_e64 v49, v44, v46, s[48:49]                  // 000000009144: D1000031 00C25D2C
	v_perm_b32 v181, v49, v48, s52                             // 00000000914C: D1ED00B5 00D26131
	v_cmp_u_f32_e64 s[48:49], v188, v188                       // 000000009154: D0480030 000379BC
	v_add3_u32 v44, v188, v47, 1                               // 00000000915C: D1FF002C 02065FBC
	v_cndmask_b32_e64 v48, v44, v46, s[48:49]                  // 000000009164: D1000030 00C25D2C
	v_cmp_u_f32_e64 s[48:49], v189, v189                       // 00000000916C: D0480030 00037BBD
	v_add3_u32 v44, v189, v47, 1                               // 000000009174: D1FF002C 02065FBD
	v_cndmask_b32_e64 v49, v44, v46, s[48:49]                  // 00000000917C: D1000031 00C25D2C
	v_perm_b32 v182, v49, v48, s52                             // 000000009184: D1ED00B6 00D26131
	v_cmp_u_f32_e64 s[48:49], v190, v190                       // 00000000918C: D0480030 00037DBE
	v_add3_u32 v44, v190, v47, 1                               // 000000009194: D1FF002C 02065FBE
	v_cndmask_b32_e64 v48, v44, v46, s[48:49]                  // 00000000919C: D1000030 00C25D2C
	v_cmp_u_f32_e64 s[48:49], v191, v191                       // 0000000091A4: D0480030 00037FBF
	v_add3_u32 v44, v191, v47, 1                               // 0000000091AC: D1FF002C 02065FBF
	v_cndmask_b32_e64 v49, v44, v46, s[48:49]                  // 0000000091B4: D1000031 00C25D2C
	v_perm_b32 v183, v49, v48, s52                             // 0000000091BC: D1ED00B7 00D26131
	v_cmp_u_f32_e64 s[48:49], v192, v192                       // 0000000091C4: D0480030 000381C0
	v_add3_u32 v44, v192, v47, 1                               // 0000000091CC: D1FF002C 02065FC0
	v_cndmask_b32_e64 v48, v44, v46, s[48:49]                  // 0000000091D4: D1000030 00C25D2C
	v_cmp_u_f32_e64 s[48:49], v193, v193                       // 0000000091DC: D0480030 000383C1
	v_add3_u32 v44, v193, v47, 1                               // 0000000091E4: D1FF002C 02065FC1
	v_cndmask_b32_e64 v49, v44, v46, s[48:49]                  // 0000000091EC: D1000031 00C25D2C
	v_perm_b32 v184, v49, v48, s52                             // 0000000091F4: D1ED00B8 00D26131
	v_cmp_u_f32_e64 s[48:49], v194, v194                       // 0000000091FC: D0480030 000385C2
	v_add3_u32 v44, v194, v47, 1                               // 000000009204: D1FF002C 02065FC2
	v_cndmask_b32_e64 v48, v44, v46, s[48:49]                  // 00000000920C: D1000030 00C25D2C
	v_cmp_u_f32_e64 s[48:49], v195, v195                       // 000000009214: D0480030 000387C3
	v_add3_u32 v44, v195, v47, 1                               // 00000000921C: D1FF002C 02065FC3
	v_cndmask_b32_e64 v49, v44, v46, s[48:49]                  // 000000009224: D1000031 00C25D2C
	v_perm_b32 v185, v49, v48, s52                             // 00000000922C: D1ED00B9 00D26131
	v_cmp_u_f32_e64 s[48:49], v196, v196                       // 000000009234: D0480030 000389C4
	v_add3_u32 v44, v196, v47, 1                               // 00000000923C: D1FF002C 02065FC4
	v_cndmask_b32_e64 v48, v44, v46, s[48:49]                  // 000000009244: D1000030 00C25D2C
	v_cmp_u_f32_e64 s[48:49], v197, v197                       // 00000000924C: D0480030 00038BC5
	v_add3_u32 v44, v197, v47, 1                               // 000000009254: D1FF002C 02065FC5
	v_cndmask_b32_e64 v49, v44, v46, s[48:49]                  // 00000000925C: D1000031 00C25D2C
	v_perm_b32 v186, v49, v48, s52                             // 000000009264: D1ED00BA 00D26131
	v_cmp_u_f32_e64 s[48:49], v198, v198                       // 00000000926C: D0480030 00038DC6
	v_add3_u32 v44, v198, v47, 1                               // 000000009274: D1FF002C 02065FC6
	v_cndmask_b32_e64 v48, v44, v46, s[48:49]                  // 00000000927C: D1000030 00C25D2C
	v_cmp_u_f32_e64 s[48:49], v199, v199                       // 000000009284: D0480030 00038FC7
	v_add3_u32 v44, v199, v47, 1                               // 00000000928C: D1FF002C 02065FC7
	v_cndmask_b32_e64 v49, v44, v46, s[48:49]                  // 000000009294: D1000031 00C25D2C
	v_perm_b32 v187, v49, v48, s52                             // 00000000929C: D1ED00BB 00D26131
	v_cmp_u_f32_e64 s[48:49], v200, v200                       // 0000000092A4: D0480030 000391C8
	v_add3_u32 v44, v200, v47, 1                               // 0000000092AC: D1FF002C 02065FC8
	v_cndmask_b32_e64 v48, v44, v46, s[48:49]                  // 0000000092B4: D1000030 00C25D2C
	v_cmp_u_f32_e64 s[48:49], v201, v201                       // 0000000092BC: D0480030 000393C9
	v_add3_u32 v44, v201, v47, 1                               // 0000000092C4: D1FF002C 02065FC9
	v_cndmask_b32_e64 v49, v44, v46, s[48:49]                  // 0000000092CC: D1000031 00C25D2C
	v_perm_b32 v188, v49, v48, s52                             // 0000000092D4: D1ED00BC 00D26131
	v_cmp_u_f32_e64 s[48:49], v202, v202                       // 0000000092DC: D0480030 000395CA
	v_add3_u32 v44, v202, v47, 1                               // 0000000092E4: D1FF002C 02065FCA
	v_cndmask_b32_e64 v48, v44, v46, s[48:49]                  // 0000000092EC: D1000030 00C25D2C
	v_cmp_u_f32_e64 s[48:49], v203, v203                       // 0000000092F4: D0480030 000397CB
	v_add3_u32 v44, v203, v47, 1                               // 0000000092FC: D1FF002C 02065FCB
	v_cndmask_b32_e64 v49, v44, v46, s[48:49]                  // 000000009304: D1000031 00C25D2C
	v_perm_b32 v189, v49, v48, s52                             // 00000000930C: D1ED00BD 00D26131
	v_cmp_u_f32_e64 s[48:49], v204, v204                       // 000000009314: D0480030 000399CC
	v_add3_u32 v44, v204, v47, 1                               // 00000000931C: D1FF002C 02065FCC
	v_cndmask_b32_e64 v48, v44, v46, s[48:49]                  // 000000009324: D1000030 00C25D2C
	v_cmp_u_f32_e64 s[48:49], v205, v205                       // 00000000932C: D0480030 00039BCD
	v_add3_u32 v44, v205, v47, 1                               // 000000009334: D1FF002C 02065FCD
	v_cndmask_b32_e64 v49, v44, v46, s[48:49]                  // 00000000933C: D1000031 00C25D2C
	v_perm_b32 v190, v49, v48, s52                             // 000000009344: D1ED00BE 00D26131
	v_cmp_u_f32_e64 s[48:49], v206, v206                       // 00000000934C: D0480030 00039DCE
	v_add3_u32 v44, v206, v47, 1                               // 000000009354: D1FF002C 02065FCE
	v_cndmask_b32_e64 v48, v44, v46, s[48:49]                  // 00000000935C: D1000030 00C25D2C
	v_cmp_u_f32_e64 s[48:49], v207, v207                       // 000000009364: D0480030 00039FCF
	v_add3_u32 v44, v207, v47, 1                               // 00000000936C: D1FF002C 02065FCF
	v_cndmask_b32_e64 v49, v44, v46, s[48:49]                  // 000000009374: D1000031 00C25D2C
	v_perm_b32 v191, v49, v48, s52                             // 00000000937C: D1ED00BF 00D26131
	ds_write_b64 v3, v[176:177] offset:30976                   // 000000009384: D89A7900 0000B003
	ds_write_b64 v3, v[178:179] offset:39680                   // 00000000938C: D89A9B00 0000B203
	ds_write_b64 v3, v[180:181] offset:33152                   // 000000009394: D89A8180 0000B403
	ds_write_b64 v3, v[182:183] offset:41856                   // 00000000939C: D89AA380 0000B603
	ds_write_b64 v3, v[184:185] offset:35328                   // 0000000093A4: D89A8A00 0000B803
	ds_write_b64 v3, v[186:187] offset:44032                   // 0000000093AC: D89AAC00 0000BA03
	ds_write_b64 v3, v[188:189] offset:37504                   // 0000000093B4: D89A9280 0000BC03
	ds_write_b64 v3, v[190:191] offset:46208                   // 0000000093BC: D89AB480 0000BE03
	s_waitcnt lgkmcnt(0)                                       // 0000000093C4: BF8CC07F
	s_barrier                                                  // 0000000093C8: BF8A0000
	ds_read_b32 v64, v4 offset:30976                           // 0000000093CC: D86C7900 40000004
	ds_read_b32 v65, v4 offset:35328                           // 0000000093D4: D86C8A00 41000004
	ds_read_b32 v66, v4 offset:31008                           // 0000000093DC: D86C7920 42000004
	ds_read_b32 v67, v4 offset:35360                           // 0000000093E4: D86C8A20 43000004
	ds_read_b32 v68, v4 offset:31040                           // 0000000093EC: D86C7940 44000004
	ds_read_b32 v69, v4 offset:35392                           // 0000000093F4: D86C8A40 45000004
	ds_read_b32 v70, v4 offset:31072                           // 0000000093FC: D86C7960 46000004
	ds_read_b32 v71, v4 offset:35424                           // 000000009404: D86C8A60 47000004
	ds_read_b32 v72, v4 offset:39680                           // 00000000940C: D86C9B00 48000004
	ds_read_b32 v73, v4 offset:44032                           // 000000009414: D86CAC00 49000004
	ds_read_b32 v74, v4 offset:39712                           // 00000000941C: D86C9B20 4A000004
	ds_read_b32 v75, v4 offset:44064                           // 000000009424: D86CAC20 4B000004
	ds_read_b32 v76, v4 offset:39744                           // 00000000942C: D86C9B40 4C000004
	ds_read_b32 v77, v4 offset:44096                           // 000000009434: D86CAC40 4D000004
	ds_read_b32 v78, v4 offset:39776                           // 00000000943C: D86C9B60 4E000004
	ds_read_b32 v79, v4 offset:44128                           // 000000009444: D86CAC60 4F000004
	s_waitcnt lgkmcnt(0)                                       // 00000000944C: BF8CC07F
	s_mov_b64 exec, s[20:21]                                   // 000000009450: BEFE0114
	global_atomic_pk_add_bf16 v80, v64, s[8:9]                 // 000000009454: DD488000 00084050
	s_mov_b64 exec, s[36:37]                                   // 00000000945C: BEFE0124
	s_mov_b64 exec, s[20:21]                                   // 000000009460: BEFE0114
	global_atomic_pk_add_bf16 v80, v65, s[8:9] offset:256      // 000000009464: DD488100 00084150
	s_mov_b64 exec, s[36:37]                                   // 00000000946C: BEFE0124
	s_mov_b64 exec, s[22:23]                                   // 000000009470: BEFE0116
	global_atomic_pk_add_bf16 v82, v66, s[8:9]                 // 000000009474: DD488000 00084252
	s_mov_b64 exec, s[36:37]                                   // 00000000947C: BEFE0124
	s_mov_b64 exec, s[22:23]                                   // 000000009480: BEFE0116
	global_atomic_pk_add_bf16 v82, v67, s[8:9] offset:256      // 000000009484: DD488100 00084352
	s_mov_b64 exec, s[36:37]                                   // 00000000948C: BEFE0124
	s_mov_b64 exec, s[24:25]                                   // 000000009490: BEFE0118
	global_atomic_pk_add_bf16 v84, v68, s[8:9]                 // 000000009494: DD488000 00084454
	s_mov_b64 exec, s[36:37]                                   // 00000000949C: BEFE0124
	s_mov_b64 exec, s[24:25]                                   // 0000000094A0: BEFE0118
	global_atomic_pk_add_bf16 v84, v69, s[8:9] offset:256      // 0000000094A4: DD488100 00084554
	s_mov_b64 exec, s[36:37]                                   // 0000000094AC: BEFE0124
	s_mov_b64 exec, s[26:27]                                   // 0000000094B0: BEFE011A
	global_atomic_pk_add_bf16 v86, v70, s[8:9]                 // 0000000094B4: DD488000 00084656
	s_mov_b64 exec, s[36:37]                                   // 0000000094BC: BEFE0124
	s_mov_b64 exec, s[26:27]                                   // 0000000094C0: BEFE011A
	global_atomic_pk_add_bf16 v86, v71, s[8:9] offset:256      // 0000000094C4: DD488100 00084756
	s_mov_b64 exec, s[36:37]                                   // 0000000094CC: BEFE0124
	s_mov_b64 exec, s[28:29]                                   // 0000000094D0: BEFE011C
	global_atomic_pk_add_bf16 v88, v72, s[8:9]                 // 0000000094D4: DD488000 00084858
	s_mov_b64 exec, s[36:37]                                   // 0000000094DC: BEFE0124
	s_mov_b64 exec, s[28:29]                                   // 0000000094E0: BEFE011C
	global_atomic_pk_add_bf16 v88, v73, s[8:9] offset:256      // 0000000094E4: DD488100 00084958
	s_mov_b64 exec, s[36:37]                                   // 0000000094EC: BEFE0124
	s_mov_b64 exec, s[30:31]                                   // 0000000094F0: BEFE011E
	global_atomic_pk_add_bf16 v90, v74, s[8:9]                 // 0000000094F4: DD488000 00084A5A
	s_mov_b64 exec, s[36:37]                                   // 0000000094FC: BEFE0124
	s_mov_b64 exec, s[30:31]                                   // 000000009500: BEFE011E
	global_atomic_pk_add_bf16 v90, v75, s[8:9] offset:256      // 000000009504: DD488100 00084B5A
	s_mov_b64 exec, s[36:37]                                   // 00000000950C: BEFE0124
	s_mov_b64 exec, s[32:33]                                   // 000000009510: BEFE0120
	global_atomic_pk_add_bf16 v92, v76, s[8:9]                 // 000000009514: DD488000 00084C5C
	s_mov_b64 exec, s[36:37]                                   // 00000000951C: BEFE0124
	s_mov_b64 exec, s[32:33]                                   // 000000009520: BEFE0120
	global_atomic_pk_add_bf16 v92, v77, s[8:9] offset:256      // 000000009524: DD488100 00084D5C
	s_mov_b64 exec, s[36:37]                                   // 00000000952C: BEFE0124
	s_mov_b64 exec, s[34:35]                                   // 000000009530: BEFE0122
	global_atomic_pk_add_bf16 v94, v78, s[8:9]                 // 000000009534: DD488000 00084E5E
	s_mov_b64 exec, s[36:37]                                   // 00000000953C: BEFE0124
	s_mov_b64 exec, s[34:35]                                   // 000000009540: BEFE0122
	global_atomic_pk_add_bf16 v94, v79, s[8:9] offset:256      // 000000009544: DD488100 00084F5E
	s_mov_b64 exec, s[36:37]                                   // 00000000954C: BEFE0124
	s_add_u32 s8, s59, s8                                      // 000000009550: 8008083B
	s_addc_u32 s9, 0, s9                                       // 000000009554: 82090980
	s_addk_i32 s80, 0x100                                      // 000000009558: B7500100
	s_cmp_lt_i32 s80, s81                                      // 00000000955C: BF045150
	s_cbranch_scc0 label_1011                                  // 000000009560: BF84F578
	s_waitcnt vmcnt(37)                                        // 000000009564: BF8C8F75
	s_barrier                                                  // 000000009568: BF8A0000
	v_mfma_i32_16x16x32_i8 v[208:211], a[96:97], v[128:129], 0 // 00000000956C: D3D700D0 0A030160
	buffer_load_dwordx4 a[0:3], v40, s[12:15], 0 offen         // 000000009574: E05C1000 80830028
	v_mfma_i32_16x16x32_i8 v[208:211], a[98:99], v[130:131], v[208:211]// 00000000957C: D3D700D0 0F430562
	v_mfma_i32_16x16x32_i8 v[212:215], a[96:97], v[152:153], 0 // 000000009584: D3D700D4 0A033160
	v_mfma_i32_16x16x32_i8 v[212:215], a[98:99], v[154:155], v[212:215]// 00000000958C: D3D700D4 0F533562
	v_mfma_i32_16x16x32_i8 v[216:219], a[100:101], v[128:129], 0// 000000009594: D3D700D8 0A030164
	buffer_load_dwordx4 a[4:7], v41, s[12:15], 0 offen         // 00000000959C: E05C1000 80830429
	v_mfma_i32_16x16x32_i8 v[216:219], a[102:103], v[130:131], v[216:219]// 0000000095A4: D3D700D8 0F630566
	v_mfma_i32_16x16x32_i8 v[220:223], a[100:101], v[152:153], 0// 0000000095AC: D3D700DC 0A033164
	v_mfma_i32_16x16x32_i8 v[220:223], a[102:103], v[154:155], v[220:223]// 0000000095B4: D3D700DC 0F733566
	v_mfma_i32_16x16x32_i8 v[224:227], a[104:105], v[128:129], 0// 0000000095BC: D3D700E0 0A030168
	buffer_load_dwordx4 a[8:11], v42, s[12:15], 0 offen        // 0000000095C4: E05C1000 8083082A
	v_mfma_i32_16x16x32_i8 v[224:227], a[106:107], v[130:131], v[224:227]// 0000000095CC: D3D700E0 0F83056A
	v_mfma_i32_16x16x32_i8 v[228:231], a[104:105], v[152:153], 0// 0000000095D4: D3D700E4 0A033168
	v_mfma_i32_16x16x32_i8 v[228:231], a[106:107], v[154:155], v[228:231]// 0000000095DC: D3D700E4 0F93356A
	v_mfma_i32_16x16x32_i8 v[232:235], a[108:109], v[128:129], 0// 0000000095E4: D3D700E8 0A03016C
	buffer_load_dwordx4 a[12:15], v43, s[12:15], 0 offen       // 0000000095EC: E05C1000 80830C2B
	s_add_u32 s12, s78, s12                                    // 0000000095F4: 800C0C4E
	s_addc_u32 s13, 0, s13                                     // 0000000095F8: 820D0D80
	v_mfma_i32_16x16x32_i8 v[232:235], a[110:111], v[130:131], v[232:235]// 0000000095FC: D3D700E8 0FA3056E
	v_mfma_i32_16x16x32_i8 v[236:239], a[108:109], v[152:153], 0// 000000009604: D3D700EC 0A03316C
	v_mfma_i32_16x16x32_i8 v[236:239], a[110:111], v[154:155], v[236:239]// 00000000960C: D3D700EC 0FB3356E
	s_waitcnt vmcnt(37)                                        // 000000009614: BF8C8F75
	v_mfma_i32_16x16x32_i8 v[208:211], a[112:113], v[132:133], v[208:211]// 000000009618: D3D700D0 0F430970
	buffer_load_dwordx4 a[16:19], v40, s[12:15], 0 offen       // 000000009620: E05C1000 80831028
	v_mfma_i32_16x16x32_i8 v[208:211], a[114:115], v[134:135], v[208:211]// 000000009628: D3D700D0 0F430D72
	v_mfma_i32_16x16x32_i8 v[212:215], a[112:113], v[156:157], v[212:215]// 000000009630: D3D700D4 0F533970
	v_mfma_i32_16x16x32_i8 v[212:215], a[114:115], v[158:159], v[212:215]// 000000009638: D3D700D4 0F533D72
	v_mfma_i32_16x16x32_i8 v[216:219], a[116:117], v[132:133], v[216:219]// 000000009640: D3D700D8 0F630974
	buffer_load_dwordx4 a[20:23], v41, s[12:15], 0 offen       // 000000009648: E05C1000 80831429
	v_mfma_i32_16x16x32_i8 v[216:219], a[118:119], v[134:135], v[216:219]// 000000009650: D3D700D8 0F630D76
	v_mfma_i32_16x16x32_i8 v[220:223], a[116:117], v[156:157], v[220:223]// 000000009658: D3D700DC 0F733974
	v_mfma_i32_16x16x32_i8 v[220:223], a[118:119], v[158:159], v[220:223]// 000000009660: D3D700DC 0F733D76
	v_mfma_i32_16x16x32_i8 v[224:227], a[120:121], v[132:133], v[224:227]// 000000009668: D3D700E0 0F830978
	buffer_load_dwordx4 a[24:27], v42, s[12:15], 0 offen       // 000000009670: E05C1000 8083182A
	v_mfma_i32_16x16x32_i8 v[224:227], a[122:123], v[134:135], v[224:227]// 000000009678: D3D700E0 0F830D7A
	v_mfma_i32_16x16x32_i8 v[228:231], a[120:121], v[156:157], v[228:231]// 000000009680: D3D700E4 0F933978
	v_mfma_i32_16x16x32_i8 v[228:231], a[122:123], v[158:159], v[228:231]// 000000009688: D3D700E4 0F933D7A
	v_mfma_i32_16x16x32_i8 v[232:235], a[124:125], v[132:133], v[232:235]// 000000009690: D3D700E8 0FA3097C
	buffer_load_dwordx4 a[28:31], v43, s[12:15], 0 offen       // 000000009698: E05C1000 80831C2B
	s_add_u32 s12, s78, s12                                    // 0000000096A0: 800C0C4E
	s_addc_u32 s13, 0, s13                                     // 0000000096A4: 820D0D80
	v_mfma_i32_16x16x32_i8 v[232:235], a[126:127], v[134:135], v[232:235]// 0000000096A8: D3D700E8 0FA30D7E
	v_mfma_i32_16x16x32_i8 v[236:239], a[124:125], v[156:157], v[236:239]// 0000000096B0: D3D700EC 0FB3397C
	v_mfma_i32_16x16x32_i8 v[236:239], a[126:127], v[158:159], v[236:239]// 0000000096B8: D3D700EC 0FB33D7E
	s_waitcnt vmcnt(37)                                        // 0000000096C0: BF8C8F75
	v_mfma_i32_16x16x32_i8 v[208:211], a[128:129], v[136:137], v[208:211]// 0000000096C4: D3D700D0 0F431180
	buffer_load_dwordx4 a[32:35], v40, s[12:15], 0 offen       // 0000000096CC: E05C1000 80832028
	v_mfma_i32_16x16x32_i8 v[208:211], a[130:131], v[138:139], v[208:211]// 0000000096D4: D3D700D0 0F431582
	v_mfma_i32_16x16x32_i8 v[212:215], a[128:129], v[160:161], v[212:215]// 0000000096DC: D3D700D4 0F534180
	v_mfma_i32_16x16x32_i8 v[212:215], a[130:131], v[162:163], v[212:215]// 0000000096E4: D3D700D4 0F534582
	v_mfma_i32_16x16x32_i8 v[216:219], a[132:133], v[136:137], v[216:219]// 0000000096EC: D3D700D8 0F631184
	buffer_load_dwordx4 a[36:39], v41, s[12:15], 0 offen       // 0000000096F4: E05C1000 80832429
	v_mfma_i32_16x16x32_i8 v[216:219], a[134:135], v[138:139], v[216:219]// 0000000096FC: D3D700D8 0F631586
	v_mfma_i32_16x16x32_i8 v[220:223], a[132:133], v[160:161], v[220:223]// 000000009704: D3D700DC 0F734184
	v_mfma_i32_16x16x32_i8 v[220:223], a[134:135], v[162:163], v[220:223]// 00000000970C: D3D700DC 0F734586
	v_mfma_i32_16x16x32_i8 v[224:227], a[136:137], v[136:137], v[224:227]// 000000009714: D3D700E0 0F831188
	buffer_load_dwordx4 a[40:43], v42, s[12:15], 0 offen       // 00000000971C: E05C1000 8083282A
	v_mfma_i32_16x16x32_i8 v[224:227], a[138:139], v[138:139], v[224:227]// 000000009724: D3D700E0 0F83158A
	v_mfma_i32_16x16x32_i8 v[228:231], a[136:137], v[160:161], v[228:231]// 00000000972C: D3D700E4 0F934188
	v_mfma_i32_16x16x32_i8 v[228:231], a[138:139], v[162:163], v[228:231]// 000000009734: D3D700E4 0F93458A
	v_mfma_i32_16x16x32_i8 v[232:235], a[140:141], v[136:137], v[232:235]// 00000000973C: D3D700E8 0FA3118C
	buffer_load_dwordx4 a[44:47], v43, s[12:15], 0 offen       // 000000009744: E05C1000 80832C2B
	s_add_u32 s12, s78, s12                                    // 00000000974C: 800C0C4E
	s_addc_u32 s13, 0, s13                                     // 000000009750: 820D0D80
	v_mfma_i32_16x16x32_i8 v[232:235], a[142:143], v[138:139], v[232:235]// 000000009754: D3D700E8 0FA3158E
	v_mfma_i32_16x16x32_i8 v[236:239], a[140:141], v[160:161], v[236:239]// 00000000975C: D3D700EC 0FB3418C
	v_mfma_i32_16x16x32_i8 v[236:239], a[142:143], v[162:163], v[236:239]// 000000009764: D3D700EC 0FB3458E
	s_waitcnt vmcnt(37)                                        // 00000000976C: BF8C8F75
	v_mfma_i32_16x16x32_i8 v[208:211], a[144:145], v[140:141], v[208:211]// 000000009770: D3D700D0 0F431990
	buffer_load_dwordx4 a[48:51], v40, s[12:15], 0 offen       // 000000009778: E05C1000 80833028
	v_mfma_i32_16x16x32_i8 v[208:211], a[146:147], v[142:143], v[208:211]// 000000009780: D3D700D0 0F431D92
	v_mfma_i32_16x16x32_i8 v[212:215], a[144:145], v[164:165], v[212:215]// 000000009788: D3D700D4 0F534990
	v_mfma_i32_16x16x32_i8 v[212:215], a[146:147], v[166:167], v[212:215]// 000000009790: D3D700D4 0F534D92
	v_mfma_i32_16x16x32_i8 v[216:219], a[148:149], v[140:141], v[216:219]// 000000009798: D3D700D8 0F631994
	buffer_load_dwordx4 a[52:55], v41, s[12:15], 0 offen       // 0000000097A0: E05C1000 80833429
	v_mfma_i32_16x16x32_i8 v[216:219], a[150:151], v[142:143], v[216:219]// 0000000097A8: D3D700D8 0F631D96
	v_mfma_i32_16x16x32_i8 v[220:223], a[148:149], v[164:165], v[220:223]// 0000000097B0: D3D700DC 0F734994
	v_mfma_i32_16x16x32_i8 v[220:223], a[150:151], v[166:167], v[220:223]// 0000000097B8: D3D700DC 0F734D96
	v_mfma_i32_16x16x32_i8 v[224:227], a[152:153], v[140:141], v[224:227]// 0000000097C0: D3D700E0 0F831998
	buffer_load_dwordx4 a[56:59], v42, s[12:15], 0 offen       // 0000000097C8: E05C1000 8083382A
	v_mfma_i32_16x16x32_i8 v[224:227], a[154:155], v[142:143], v[224:227]// 0000000097D0: D3D700E0 0F831D9A
	v_mfma_i32_16x16x32_i8 v[228:231], a[152:153], v[164:165], v[228:231]// 0000000097D8: D3D700E4 0F934998
	v_mfma_i32_16x16x32_i8 v[228:231], a[154:155], v[166:167], v[228:231]// 0000000097E0: D3D700E4 0F934D9A
	v_mfma_i32_16x16x32_i8 v[232:235], a[156:157], v[140:141], v[232:235]// 0000000097E8: D3D700E8 0FA3199C
	buffer_load_dwordx4 a[60:63], v43, s[12:15], 0 offen       // 0000000097F0: E05C1000 80833C2B
	s_add_u32 s12, s78, s12                                    // 0000000097F8: 800C0C4E
	s_addc_u32 s13, 0, s13                                     // 0000000097FC: 820D0D80
	v_mfma_i32_16x16x32_i8 v[232:235], a[158:159], v[142:143], v[232:235]// 000000009800: D3D700E8 0FA31D9E
	v_mfma_i32_16x16x32_i8 v[236:239], a[156:157], v[164:165], v[236:239]// 000000009808: D3D700EC 0FB3499C
	v_mfma_i32_16x16x32_i8 v[236:239], a[158:159], v[166:167], v[236:239]// 000000009810: D3D700EC 0FB34D9E
	s_waitcnt vmcnt(37)                                        // 000000009818: BF8C8F75
	v_mfma_i32_16x16x32_i8 v[208:211], a[160:161], v[144:145], v[208:211]// 00000000981C: D3D700D0 0F4321A0
	buffer_load_dwordx4 a[64:67], v40, s[12:15], 0 offen       // 000000009824: E05C1000 80834028
	v_mfma_i32_16x16x32_i8 v[208:211], a[162:163], v[146:147], v[208:211]// 00000000982C: D3D700D0 0F4325A2
	v_mfma_i32_16x16x32_i8 v[212:215], a[160:161], v[168:169], v[212:215]// 000000009834: D3D700D4 0F5351A0
	v_mfma_i32_16x16x32_i8 v[212:215], a[162:163], v[170:171], v[212:215]// 00000000983C: D3D700D4 0F5355A2
	v_mfma_i32_16x16x32_i8 v[216:219], a[164:165], v[144:145], v[216:219]// 000000009844: D3D700D8 0F6321A4
	buffer_load_dwordx4 a[68:71], v41, s[12:15], 0 offen       // 00000000984C: E05C1000 80834429
	v_mfma_i32_16x16x32_i8 v[216:219], a[166:167], v[146:147], v[216:219]// 000000009854: D3D700D8 0F6325A6
	v_mfma_i32_16x16x32_i8 v[220:223], a[164:165], v[168:169], v[220:223]// 00000000985C: D3D700DC 0F7351A4
	v_mfma_i32_16x16x32_i8 v[220:223], a[166:167], v[170:171], v[220:223]// 000000009864: D3D700DC 0F7355A6
	v_mfma_i32_16x16x32_i8 v[224:227], a[168:169], v[144:145], v[224:227]// 00000000986C: D3D700E0 0F8321A8
	buffer_load_dwordx4 a[72:75], v42, s[12:15], 0 offen       // 000000009874: E05C1000 8083482A
	v_mfma_i32_16x16x32_i8 v[224:227], a[170:171], v[146:147], v[224:227]// 00000000987C: D3D700E0 0F8325AA
	v_mfma_i32_16x16x32_i8 v[228:231], a[168:169], v[168:169], v[228:231]// 000000009884: D3D700E4 0F9351A8
	v_mfma_i32_16x16x32_i8 v[228:231], a[170:171], v[170:171], v[228:231]// 00000000988C: D3D700E4 0F9355AA
	v_mfma_i32_16x16x32_i8 v[232:235], a[172:173], v[144:145], v[232:235]// 000000009894: D3D700E8 0FA321AC
	buffer_load_dwordx4 a[76:79], v43, s[12:15], 0 offen       // 00000000989C: E05C1000 80834C2B
	s_add_u32 s12, s78, s12                                    // 0000000098A4: 800C0C4E
	s_addc_u32 s13, 0, s13                                     // 0000000098A8: 820D0D80
	v_mfma_i32_16x16x32_i8 v[232:235], a[174:175], v[146:147], v[232:235]// 0000000098AC: D3D700E8 0FA325AE
	v_mfma_i32_16x16x32_i8 v[236:239], a[172:173], v[168:169], v[236:239]// 0000000098B4: D3D700EC 0FB351AC
	v_mfma_i32_16x16x32_i8 v[236:239], a[174:175], v[170:171], v[236:239]// 0000000098BC: D3D700EC 0FB355AE
	s_waitcnt vmcnt(36)                                        // 0000000098C4: BF8C8F74
	v_mfma_i32_16x16x32_i8 v[208:211], a[176:177], v[148:149], v[208:211]// 0000000098C8: D3D700D0 0F4329B0
	buffer_load_dwordx4 a[80:83], v40, s[12:15], 0 offen       // 0000000098D0: E05C1000 80835028
	v_mfma_i32_16x16x32_i8 v[208:211], a[178:179], v[150:151], v[208:211]// 0000000098D8: D3D700D0 0F432DB2
	v_mfma_i32_16x16x32_i8 v[212:215], a[176:177], v[172:173], v[212:215]// 0000000098E0: D3D700D4 0F5359B0
	buffer_load_dword v12, v5, s[16:19], 0 offen               // 0000000098E8: E0501000 80040C05
	v_mfma_i32_16x16x32_i8 v[212:215], a[178:179], v[174:175], v[212:215]// 0000000098F0: D3D700D4 0F535DB2
	v_mfma_i32_16x16x32_i8 v[216:219], a[180:181], v[148:149], v[216:219]// 0000000098F8: D3D700D8 0F6329B4
	buffer_load_dwordx4 a[84:87], v41, s[12:15], 0 offen       // 000000009900: E05C1000 80835429
	v_mfma_i32_16x16x32_i8 v[216:219], a[182:183], v[150:151], v[216:219]// 000000009908: D3D700D8 0F632DB6
	v_mfma_i32_16x16x32_i8 v[220:223], a[180:181], v[172:173], v[220:223]// 000000009910: D3D700DC 0F7359B4
	v_mfma_i32_16x16x32_i8 v[220:223], a[182:183], v[174:175], v[220:223]// 000000009918: D3D700DC 0F735DB6
	v_mfma_i32_16x16x32_i8 v[224:227], a[184:185], v[148:149], v[224:227]// 000000009920: D3D700E0 0F8329B8
	buffer_load_dwordx4 a[88:91], v42, s[12:15], 0 offen       // 000000009928: E05C1000 8083582A
	v_mfma_i32_16x16x32_i8 v[224:227], a[186:187], v[150:151], v[224:227]// 000000009930: D3D700E0 0F832DBA
	v_mfma_i32_16x16x32_i8 v[228:231], a[184:185], v[172:173], v[228:231]// 000000009938: D3D700E4 0F9359B8
	v_mfma_i32_16x16x32_i8 v[228:231], a[186:187], v[174:175], v[228:231]// 000000009940: D3D700E4 0F935DBA
	v_mfma_i32_16x16x32_i8 v[232:235], a[188:189], v[148:149], v[232:235]// 000000009948: D3D700E8 0FA329BC
	buffer_load_dwordx4 a[92:95], v43, s[12:15], 0 offen       // 000000009950: E05C1000 80835C2B
	v_mfma_i32_16x16x32_i8 v[232:235], a[190:191], v[150:151], v[232:235]// 000000009958: D3D700E8 0FA32DBE
	v_mfma_i32_16x16x32_i8 v[236:239], a[188:189], v[172:173], v[236:239]// 000000009960: D3D700EC 0FB359BC
	v_mfma_i32_16x16x32_i8 v[236:239], a[190:191], v[174:175], v[236:239]// 000000009968: D3D700EC 0FB35DBE
	s_add_u32 s60, 0x200, s80                                  // 000000009970: 803C50FF 00000200
	s_cmp_lt_u32 s60, s81                                      // 000000009978: BF0A513C
	s_cselect_b32 s56, s56, 0                                  // 00000000997C: 85388038
	s_cselect_b32 s78, s78, 0                                  // 000000009980: 854E804E
	s_cselect_b32 s79, s79, 0                                  // 000000009984: 854F804F
	s_add_u32 s12, s56, s12                                    // 000000009988: 800C0C38
	s_addc_u32 s13, 0, s13                                     // 00000000998C: 820D0D80
	s_add_u32 s16, s79, s16                                    // 000000009990: 8010104F
	s_addc_u32 s17, 0, s17                                     // 000000009994: 82111180
	v_cvt_f32_i32_e32 v208, v208                               // 000000009998: 7FA00BD0
	v_cvt_f32_i32_e32 v209, v209                               // 00000000999C: 7FA20BD1
	v_cvt_f32_i32_e32 v210, v210                               // 0000000099A0: 7FA40BD2
	v_cvt_f32_i32_e32 v211, v211                               // 0000000099A4: 7FA60BD3
	v_mul_f32_e32 v208, v24, v208                              // 0000000099A8: 0BA1A118
	v_mul_f32_e32 v209, v24, v209                              // 0000000099AC: 0BA3A318
	v_mul_f32_e32 v210, v24, v210                              // 0000000099B0: 0BA5A518
	v_mul_f32_e32 v211, v24, v211                              // 0000000099B4: 0BA7A718
	v_mul_f32_dpp v208, v13, v208 row_newbcast:0 row_mask:0xf bank_mask:0xf// 0000000099B8: 0BA1A0FA FF01500D
	v_mul_f32_dpp v209, v13, v209 row_newbcast:1 row_mask:0xf bank_mask:0xf// 0000000099C0: 0BA3A2FA FF01510D
	v_mul_f32_dpp v210, v13, v210 row_newbcast:2 row_mask:0xf bank_mask:0xf// 0000000099C8: 0BA5A4FA FF01520D
	v_mul_f32_dpp v211, v13, v211 row_newbcast:3 row_mask:0xf bank_mask:0xf// 0000000099D0: 0BA7A6FA FF01530D
	v_mul_f32_e32 v208, v20, v208                              // 0000000099D8: 0BA1A114
	v_mul_f32_e32 v209, v20, v209                              // 0000000099DC: 0BA3A314
	v_mul_f32_e32 v210, v20, v210                              // 0000000099E0: 0BA5A514
	v_mul_f32_e32 v211, v20, v211                              // 0000000099E4: 0BA7A714
	v_cvt_f32_i32_e32 v212, v212                               // 0000000099E8: 7FA80BD4
	v_cvt_f32_i32_e32 v213, v213                               // 0000000099EC: 7FAA0BD5
	v_cvt_f32_i32_e32 v214, v214                               // 0000000099F0: 7FAC0BD6
	v_cvt_f32_i32_e32 v215, v215                               // 0000000099F4: 7FAE0BD7
	v_mul_f32_e32 v212, v25, v212                              // 0000000099F8: 0BA9A919
	v_mul_f32_e32 v213, v25, v213                              // 0000000099FC: 0BABAB19
	v_mul_f32_e32 v214, v25, v214                              // 000000009A00: 0BADAD19
	v_mul_f32_e32 v215, v25, v215                              // 000000009A04: 0BAFAF19
	v_mul_f32_dpp v212, v13, v212 row_newbcast:0 row_mask:0xf bank_mask:0xf// 000000009A08: 0BA9A8FA FF01500D
	v_mul_f32_dpp v213, v13, v213 row_newbcast:1 row_mask:0xf bank_mask:0xf// 000000009A10: 0BABAAFA FF01510D
	v_mul_f32_dpp v214, v13, v214 row_newbcast:2 row_mask:0xf bank_mask:0xf// 000000009A18: 0BADACFA FF01520D
	v_mul_f32_dpp v215, v13, v215 row_newbcast:3 row_mask:0xf bank_mask:0xf// 000000009A20: 0BAFAEFA FF01530D
	v_mul_f32_e32 v212, v21, v212                              // 000000009A28: 0BA9A915
	v_mul_f32_e32 v213, v21, v213                              // 000000009A2C: 0BABAB15
	v_mul_f32_e32 v214, v21, v214                              // 000000009A30: 0BADAD15
	v_mul_f32_e32 v215, v21, v215                              // 000000009A34: 0BAFAF15
	v_cvt_f32_i32_e32 v216, v216                               // 000000009A38: 7FB00BD8
	v_cvt_f32_i32_e32 v217, v217                               // 000000009A3C: 7FB20BD9
	v_cvt_f32_i32_e32 v218, v218                               // 000000009A40: 7FB40BDA
	v_cvt_f32_i32_e32 v219, v219                               // 000000009A44: 7FB60BDB
	v_mul_f32_e32 v216, v24, v216                              // 000000009A48: 0BB1B118
	v_mul_f32_e32 v217, v24, v217                              // 000000009A4C: 0BB3B318
	v_mul_f32_e32 v218, v24, v218                              // 000000009A50: 0BB5B518
	v_mul_f32_e32 v219, v24, v219                              // 000000009A54: 0BB7B718
	v_mul_f32_dpp v216, v13, v216 row_newbcast:4 row_mask:0xf bank_mask:0xf// 000000009A58: 0BB1B0FA FF01540D
	v_mul_f32_dpp v217, v13, v217 row_newbcast:5 row_mask:0xf bank_mask:0xf// 000000009A60: 0BB3B2FA FF01550D
	v_mul_f32_dpp v218, v13, v218 row_newbcast:6 row_mask:0xf bank_mask:0xf// 000000009A68: 0BB5B4FA FF01560D
	v_mul_f32_dpp v219, v13, v219 row_newbcast:7 row_mask:0xf bank_mask:0xf// 000000009A70: 0BB7B6FA FF01570D
	v_mul_f32_e32 v216, v20, v216                              // 000000009A78: 0BB1B114
	v_mul_f32_e32 v217, v20, v217                              // 000000009A7C: 0BB3B314
	v_mul_f32_e32 v218, v20, v218                              // 000000009A80: 0BB5B514
	v_mul_f32_e32 v219, v20, v219                              // 000000009A84: 0BB7B714
	v_cvt_f32_i32_e32 v220, v220                               // 000000009A88: 7FB80BDC
	v_cvt_f32_i32_e32 v221, v221                               // 000000009A8C: 7FBA0BDD
	v_cvt_f32_i32_e32 v222, v222                               // 000000009A90: 7FBC0BDE
	v_cvt_f32_i32_e32 v223, v223                               // 000000009A94: 7FBE0BDF
	v_mul_f32_e32 v220, v25, v220                              // 000000009A98: 0BB9B919
	v_mul_f32_e32 v221, v25, v221                              // 000000009A9C: 0BBBBB19
	v_mul_f32_e32 v222, v25, v222                              // 000000009AA0: 0BBDBD19
	v_mul_f32_e32 v223, v25, v223                              // 000000009AA4: 0BBFBF19
	v_mul_f32_dpp v220, v13, v220 row_newbcast:4 row_mask:0xf bank_mask:0xf// 000000009AA8: 0BB9B8FA FF01540D
	v_mul_f32_dpp v221, v13, v221 row_newbcast:5 row_mask:0xf bank_mask:0xf// 000000009AB0: 0BBBBAFA FF01550D
	v_mul_f32_dpp v222, v13, v222 row_newbcast:6 row_mask:0xf bank_mask:0xf// 000000009AB8: 0BBDBCFA FF01560D
	v_mul_f32_dpp v223, v13, v223 row_newbcast:7 row_mask:0xf bank_mask:0xf// 000000009AC0: 0BBFBEFA FF01570D
	v_mul_f32_e32 v220, v21, v220                              // 000000009AC8: 0BB9B915
	v_mul_f32_e32 v221, v21, v221                              // 000000009ACC: 0BBBBB15
	v_mul_f32_e32 v222, v21, v222                              // 000000009AD0: 0BBDBD15
	v_mul_f32_e32 v223, v21, v223                              // 000000009AD4: 0BBFBF15
	v_cvt_f32_i32_e32 v224, v224                               // 000000009AD8: 7FC00BE0
	v_cvt_f32_i32_e32 v225, v225                               // 000000009ADC: 7FC20BE1
	v_cvt_f32_i32_e32 v226, v226                               // 000000009AE0: 7FC40BE2
	v_cvt_f32_i32_e32 v227, v227                               // 000000009AE4: 7FC60BE3
	v_mul_f32_e32 v224, v24, v224                              // 000000009AE8: 0BC1C118
	v_mul_f32_e32 v225, v24, v225                              // 000000009AEC: 0BC3C318
	v_mul_f32_e32 v226, v24, v226                              // 000000009AF0: 0BC5C518
	v_mul_f32_e32 v227, v24, v227                              // 000000009AF4: 0BC7C718
	v_mul_f32_dpp v224, v13, v224 row_newbcast:8 row_mask:0xf bank_mask:0xf// 000000009AF8: 0BC1C0FA FF01580D
	v_mul_f32_dpp v225, v13, v225 row_newbcast:9 row_mask:0xf bank_mask:0xf// 000000009B00: 0BC3C2FA FF01590D
	v_mul_f32_dpp v226, v13, v226 row_newbcast:10 row_mask:0xf bank_mask:0xf// 000000009B08: 0BC5C4FA FF015A0D
	v_mul_f32_dpp v227, v13, v227 row_newbcast:11 row_mask:0xf bank_mask:0xf// 000000009B10: 0BC7C6FA FF015B0D
	v_mul_f32_e32 v224, v20, v224                              // 000000009B18: 0BC1C114
	v_mul_f32_e32 v225, v20, v225                              // 000000009B1C: 0BC3C314
	v_mul_f32_e32 v226, v20, v226                              // 000000009B20: 0BC5C514
	v_mul_f32_e32 v227, v20, v227                              // 000000009B24: 0BC7C714
	v_cvt_f32_i32_e32 v228, v228                               // 000000009B28: 7FC80BE4
	v_cvt_f32_i32_e32 v229, v229                               // 000000009B2C: 7FCA0BE5
	v_cvt_f32_i32_e32 v230, v230                               // 000000009B30: 7FCC0BE6
	v_cvt_f32_i32_e32 v231, v231                               // 000000009B34: 7FCE0BE7
	v_mul_f32_e32 v228, v25, v228                              // 000000009B38: 0BC9C919
	v_mul_f32_e32 v229, v25, v229                              // 000000009B3C: 0BCBCB19
	v_mul_f32_e32 v230, v25, v230                              // 000000009B40: 0BCDCD19
	v_mul_f32_e32 v231, v25, v231                              // 000000009B44: 0BCFCF19
	v_mul_f32_dpp v228, v13, v228 row_newbcast:8 row_mask:0xf bank_mask:0xf// 000000009B48: 0BC9C8FA FF01580D
	v_mul_f32_dpp v229, v13, v229 row_newbcast:9 row_mask:0xf bank_mask:0xf// 000000009B50: 0BCBCAFA FF01590D
	v_mul_f32_dpp v230, v13, v230 row_newbcast:10 row_mask:0xf bank_mask:0xf// 000000009B58: 0BCDCCFA FF015A0D
	v_mul_f32_dpp v231, v13, v231 row_newbcast:11 row_mask:0xf bank_mask:0xf// 000000009B60: 0BCFCEFA FF015B0D
	v_mul_f32_e32 v228, v21, v228                              // 000000009B68: 0BC9C915
	v_mul_f32_e32 v229, v21, v229                              // 000000009B6C: 0BCBCB15
	v_mul_f32_e32 v230, v21, v230                              // 000000009B70: 0BCDCD15
	v_mul_f32_e32 v231, v21, v231                              // 000000009B74: 0BCFCF15
	v_cvt_f32_i32_e32 v232, v232                               // 000000009B78: 7FD00BE8
	v_cvt_f32_i32_e32 v233, v233                               // 000000009B7C: 7FD20BE9
	v_cvt_f32_i32_e32 v234, v234                               // 000000009B80: 7FD40BEA
	v_cvt_f32_i32_e32 v235, v235                               // 000000009B84: 7FD60BEB
	v_mul_f32_e32 v232, v24, v232                              // 000000009B88: 0BD1D118
	v_mul_f32_e32 v233, v24, v233                              // 000000009B8C: 0BD3D318
	v_mul_f32_e32 v234, v24, v234                              // 000000009B90: 0BD5D518
	v_mul_f32_e32 v235, v24, v235                              // 000000009B94: 0BD7D718
	v_mul_f32_dpp v232, v13, v232 row_newbcast:12 row_mask:0xf bank_mask:0xf// 000000009B98: 0BD1D0FA FF015C0D
	v_mul_f32_dpp v233, v13, v233 row_newbcast:13 row_mask:0xf bank_mask:0xf// 000000009BA0: 0BD3D2FA FF015D0D
	v_mul_f32_dpp v234, v13, v234 row_newbcast:14 row_mask:0xf bank_mask:0xf// 000000009BA8: 0BD5D4FA FF015E0D
	v_mul_f32_dpp v235, v13, v235 row_newbcast:15 row_mask:0xf bank_mask:0xf// 000000009BB0: 0BD7D6FA FF015F0D
	v_mul_f32_e32 v232, v20, v232                              // 000000009BB8: 0BD1D114
	v_mul_f32_e32 v233, v20, v233                              // 000000009BBC: 0BD3D314
	v_mul_f32_e32 v234, v20, v234                              // 000000009BC0: 0BD5D514
	v_mul_f32_e32 v235, v20, v235                              // 000000009BC4: 0BD7D714
	v_cvt_f32_i32_e32 v236, v236                               // 000000009BC8: 7FD80BEC
	v_cvt_f32_i32_e32 v237, v237                               // 000000009BCC: 7FDA0BED
	v_cvt_f32_i32_e32 v238, v238                               // 000000009BD0: 7FDC0BEE
	v_cvt_f32_i32_e32 v239, v239                               // 000000009BD4: 7FDE0BEF
	v_mul_f32_e32 v236, v25, v236                              // 000000009BD8: 0BD9D919
	v_mul_f32_e32 v237, v25, v237                              // 000000009BDC: 0BDBDB19
	v_mul_f32_e32 v238, v25, v238                              // 000000009BE0: 0BDDDD19
	v_mul_f32_e32 v239, v25, v239                              // 000000009BE4: 0BDFDF19
	v_mul_f32_dpp v236, v13, v236 row_newbcast:12 row_mask:0xf bank_mask:0xf// 000000009BE8: 0BD9D8FA FF015C0D
	v_mul_f32_dpp v237, v13, v237 row_newbcast:13 row_mask:0xf bank_mask:0xf// 000000009BF0: 0BDBDAFA FF015D0D
	v_mul_f32_dpp v238, v13, v238 row_newbcast:14 row_mask:0xf bank_mask:0xf// 000000009BF8: 0BDDDCFA FF015E0D
	v_mul_f32_dpp v239, v13, v239 row_newbcast:15 row_mask:0xf bank_mask:0xf// 000000009C00: 0BDFDEFA FF015F0D
	v_mul_f32_e32 v236, v21, v236                              // 000000009C08: 0BD9D915
	v_mul_f32_e32 v237, v21, v237                              // 000000009C0C: 0BDBDB15
	v_mul_f32_e32 v238, v21, v238                              // 000000009C10: 0BDDDD15
	v_mul_f32_e32 v239, v21, v239                              // 000000009C14: 0BDFDF15
	v_cmp_u_f32_e64 s[48:49], v208, v208                       // 000000009C18: D0480030 0003A1D0
	v_add3_u32 v44, v208, v47, 1                               // 000000009C20: D1FF002C 02065FD0
	v_cndmask_b32_e64 v48, v44, v46, s[48:49]                  // 000000009C28: D1000030 00C25D2C
	v_cmp_u_f32_e64 s[48:49], v209, v209                       // 000000009C30: D0480030 0003A3D1
	v_add3_u32 v44, v209, v47, 1                               // 000000009C38: D1FF002C 02065FD1
	v_cndmask_b32_e64 v49, v44, v46, s[48:49]                  // 000000009C40: D1000031 00C25D2C
	v_perm_b32 v208, v49, v48, s52                             // 000000009C48: D1ED00D0 00D26131
	v_cmp_u_f32_e64 s[48:49], v210, v210                       // 000000009C50: D0480030 0003A5D2
	v_add3_u32 v44, v210, v47, 1                               // 000000009C58: D1FF002C 02065FD2
	v_cndmask_b32_e64 v48, v44, v46, s[48:49]                  // 000000009C60: D1000030 00C25D2C
	v_cmp_u_f32_e64 s[48:49], v211, v211                       // 000000009C68: D0480030 0003A7D3
	v_add3_u32 v44, v211, v47, 1                               // 000000009C70: D1FF002C 02065FD3
	v_cndmask_b32_e64 v49, v44, v46, s[48:49]                  // 000000009C78: D1000031 00C25D2C
	v_perm_b32 v209, v49, v48, s52                             // 000000009C80: D1ED00D1 00D26131
	v_cmp_u_f32_e64 s[48:49], v212, v212                       // 000000009C88: D0480030 0003A9D4
	v_add3_u32 v44, v212, v47, 1                               // 000000009C90: D1FF002C 02065FD4
	v_cndmask_b32_e64 v48, v44, v46, s[48:49]                  // 000000009C98: D1000030 00C25D2C
	v_cmp_u_f32_e64 s[48:49], v213, v213                       // 000000009CA0: D0480030 0003ABD5
	v_add3_u32 v44, v213, v47, 1                               // 000000009CA8: D1FF002C 02065FD5
	v_cndmask_b32_e64 v49, v44, v46, s[48:49]                  // 000000009CB0: D1000031 00C25D2C
	v_perm_b32 v210, v49, v48, s52                             // 000000009CB8: D1ED00D2 00D26131
	v_cmp_u_f32_e64 s[48:49], v214, v214                       // 000000009CC0: D0480030 0003ADD6
	v_add3_u32 v44, v214, v47, 1                               // 000000009CC8: D1FF002C 02065FD6
	v_cndmask_b32_e64 v48, v44, v46, s[48:49]                  // 000000009CD0: D1000030 00C25D2C
	v_cmp_u_f32_e64 s[48:49], v215, v215                       // 000000009CD8: D0480030 0003AFD7
	v_add3_u32 v44, v215, v47, 1                               // 000000009CE0: D1FF002C 02065FD7
	v_cndmask_b32_e64 v49, v44, v46, s[48:49]                  // 000000009CE8: D1000031 00C25D2C
	v_perm_b32 v211, v49, v48, s52                             // 000000009CF0: D1ED00D3 00D26131
	v_cmp_u_f32_e64 s[48:49], v216, v216                       // 000000009CF8: D0480030 0003B1D8
	v_add3_u32 v44, v216, v47, 1                               // 000000009D00: D1FF002C 02065FD8
	v_cndmask_b32_e64 v48, v44, v46, s[48:49]                  // 000000009D08: D1000030 00C25D2C
	v_cmp_u_f32_e64 s[48:49], v217, v217                       // 000000009D10: D0480030 0003B3D9
	v_add3_u32 v44, v217, v47, 1                               // 000000009D18: D1FF002C 02065FD9
	v_cndmask_b32_e64 v49, v44, v46, s[48:49]                  // 000000009D20: D1000031 00C25D2C
	v_perm_b32 v212, v49, v48, s52                             // 000000009D28: D1ED00D4 00D26131
	v_cmp_u_f32_e64 s[48:49], v218, v218                       // 000000009D30: D0480030 0003B5DA
	v_add3_u32 v44, v218, v47, 1                               // 000000009D38: D1FF002C 02065FDA
	v_cndmask_b32_e64 v48, v44, v46, s[48:49]                  // 000000009D40: D1000030 00C25D2C
	v_cmp_u_f32_e64 s[48:49], v219, v219                       // 000000009D48: D0480030 0003B7DB
	v_add3_u32 v44, v219, v47, 1                               // 000000009D50: D1FF002C 02065FDB
	v_cndmask_b32_e64 v49, v44, v46, s[48:49]                  // 000000009D58: D1000031 00C25D2C
	v_perm_b32 v213, v49, v48, s52                             // 000000009D60: D1ED00D5 00D26131
	v_cmp_u_f32_e64 s[48:49], v220, v220                       // 000000009D68: D0480030 0003B9DC
	v_add3_u32 v44, v220, v47, 1                               // 000000009D70: D1FF002C 02065FDC
	v_cndmask_b32_e64 v48, v44, v46, s[48:49]                  // 000000009D78: D1000030 00C25D2C
	v_cmp_u_f32_e64 s[48:49], v221, v221                       // 000000009D80: D0480030 0003BBDD
	v_add3_u32 v44, v221, v47, 1                               // 000000009D88: D1FF002C 02065FDD
	v_cndmask_b32_e64 v49, v44, v46, s[48:49]                  // 000000009D90: D1000031 00C25D2C
	v_perm_b32 v214, v49, v48, s52                             // 000000009D98: D1ED00D6 00D26131
	v_cmp_u_f32_e64 s[48:49], v222, v222                       // 000000009DA0: D0480030 0003BDDE
	v_add3_u32 v44, v222, v47, 1                               // 000000009DA8: D1FF002C 02065FDE
	v_cndmask_b32_e64 v48, v44, v46, s[48:49]                  // 000000009DB0: D1000030 00C25D2C
	v_cmp_u_f32_e64 s[48:49], v223, v223                       // 000000009DB8: D0480030 0003BFDF
	v_add3_u32 v44, v223, v47, 1                               // 000000009DC0: D1FF002C 02065FDF
	v_cndmask_b32_e64 v49, v44, v46, s[48:49]                  // 000000009DC8: D1000031 00C25D2C
	v_perm_b32 v215, v49, v48, s52                             // 000000009DD0: D1ED00D7 00D26131
	v_cmp_u_f32_e64 s[48:49], v224, v224                       // 000000009DD8: D0480030 0003C1E0
	v_add3_u32 v44, v224, v47, 1                               // 000000009DE0: D1FF002C 02065FE0
	v_cndmask_b32_e64 v48, v44, v46, s[48:49]                  // 000000009DE8: D1000030 00C25D2C
	v_cmp_u_f32_e64 s[48:49], v225, v225                       // 000000009DF0: D0480030 0003C3E1
	v_add3_u32 v44, v225, v47, 1                               // 000000009DF8: D1FF002C 02065FE1
	v_cndmask_b32_e64 v49, v44, v46, s[48:49]                  // 000000009E00: D1000031 00C25D2C
	v_perm_b32 v216, v49, v48, s52                             // 000000009E08: D1ED00D8 00D26131
	v_cmp_u_f32_e64 s[48:49], v226, v226                       // 000000009E10: D0480030 0003C5E2
	v_add3_u32 v44, v226, v47, 1                               // 000000009E18: D1FF002C 02065FE2
	v_cndmask_b32_e64 v48, v44, v46, s[48:49]                  // 000000009E20: D1000030 00C25D2C
	v_cmp_u_f32_e64 s[48:49], v227, v227                       // 000000009E28: D0480030 0003C7E3
	v_add3_u32 v44, v227, v47, 1                               // 000000009E30: D1FF002C 02065FE3
	v_cndmask_b32_e64 v49, v44, v46, s[48:49]                  // 000000009E38: D1000031 00C25D2C
	v_perm_b32 v217, v49, v48, s52                             // 000000009E40: D1ED00D9 00D26131
	v_cmp_u_f32_e64 s[48:49], v228, v228                       // 000000009E48: D0480030 0003C9E4
	v_add3_u32 v44, v228, v47, 1                               // 000000009E50: D1FF002C 02065FE4
	v_cndmask_b32_e64 v48, v44, v46, s[48:49]                  // 000000009E58: D1000030 00C25D2C
	v_cmp_u_f32_e64 s[48:49], v229, v229                       // 000000009E60: D0480030 0003CBE5
	v_add3_u32 v44, v229, v47, 1                               // 000000009E68: D1FF002C 02065FE5
	v_cndmask_b32_e64 v49, v44, v46, s[48:49]                  // 000000009E70: D1000031 00C25D2C
	v_perm_b32 v218, v49, v48, s52                             // 000000009E78: D1ED00DA 00D26131
	v_cmp_u_f32_e64 s[48:49], v230, v230                       // 000000009E80: D0480030 0003CDE6
	v_add3_u32 v44, v230, v47, 1                               // 000000009E88: D1FF002C 02065FE6
	v_cndmask_b32_e64 v48, v44, v46, s[48:49]                  // 000000009E90: D1000030 00C25D2C
	v_cmp_u_f32_e64 s[48:49], v231, v231                       // 000000009E98: D0480030 0003CFE7
	v_add3_u32 v44, v231, v47, 1                               // 000000009EA0: D1FF002C 02065FE7
	v_cndmask_b32_e64 v49, v44, v46, s[48:49]                  // 000000009EA8: D1000031 00C25D2C
	v_perm_b32 v219, v49, v48, s52                             // 000000009EB0: D1ED00DB 00D26131
	v_cmp_u_f32_e64 s[48:49], v232, v232                       // 000000009EB8: D0480030 0003D1E8
	v_add3_u32 v44, v232, v47, 1                               // 000000009EC0: D1FF002C 02065FE8
	v_cndmask_b32_e64 v48, v44, v46, s[48:49]                  // 000000009EC8: D1000030 00C25D2C
	v_cmp_u_f32_e64 s[48:49], v233, v233                       // 000000009ED0: D0480030 0003D3E9
	v_add3_u32 v44, v233, v47, 1                               // 000000009ED8: D1FF002C 02065FE9
	v_cndmask_b32_e64 v49, v44, v46, s[48:49]                  // 000000009EE0: D1000031 00C25D2C
	v_perm_b32 v220, v49, v48, s52                             // 000000009EE8: D1ED00DC 00D26131
	v_cmp_u_f32_e64 s[48:49], v234, v234                       // 000000009EF0: D0480030 0003D5EA
	v_add3_u32 v44, v234, v47, 1                               // 000000009EF8: D1FF002C 02065FEA
	v_cndmask_b32_e64 v48, v44, v46, s[48:49]                  // 000000009F00: D1000030 00C25D2C
	v_cmp_u_f32_e64 s[48:49], v235, v235                       // 000000009F08: D0480030 0003D7EB
	v_add3_u32 v44, v235, v47, 1                               // 000000009F10: D1FF002C 02065FEB
	v_cndmask_b32_e64 v49, v44, v46, s[48:49]                  // 000000009F18: D1000031 00C25D2C
	v_perm_b32 v221, v49, v48, s52                             // 000000009F20: D1ED00DD 00D26131
	v_cmp_u_f32_e64 s[48:49], v236, v236                       // 000000009F28: D0480030 0003D9EC
	v_add3_u32 v44, v236, v47, 1                               // 000000009F30: D1FF002C 02065FEC
	v_cndmask_b32_e64 v48, v44, v46, s[48:49]                  // 000000009F38: D1000030 00C25D2C
	v_cmp_u_f32_e64 s[48:49], v237, v237                       // 000000009F40: D0480030 0003DBED
	v_add3_u32 v44, v237, v47, 1                               // 000000009F48: D1FF002C 02065FED
	v_cndmask_b32_e64 v49, v44, v46, s[48:49]                  // 000000009F50: D1000031 00C25D2C
	v_perm_b32 v222, v49, v48, s52                             // 000000009F58: D1ED00DE 00D26131
	v_cmp_u_f32_e64 s[48:49], v238, v238                       // 000000009F60: D0480030 0003DDEE
	v_add3_u32 v44, v238, v47, 1                               // 000000009F68: D1FF002C 02065FEE
	v_cndmask_b32_e64 v48, v44, v46, s[48:49]                  // 000000009F70: D1000030 00C25D2C
	v_cmp_u_f32_e64 s[48:49], v239, v239                       // 000000009F78: D0480030 0003DFEF
	v_add3_u32 v44, v239, v47, 1                               // 000000009F80: D1FF002C 02065FEF
	v_cndmask_b32_e64 v49, v44, v46, s[48:49]                  // 000000009F88: D1000031 00C25D2C
	v_perm_b32 v223, v49, v48, s52                             // 000000009F90: D1ED00DF 00D26131
	ds_write_b64 v3, v[208:209] offset:30976                   // 000000009F98: D89A7900 0000D003
	ds_write_b64 v3, v[210:211] offset:39680                   // 000000009FA0: D89A9B00 0000D203
	ds_write_b64 v3, v[212:213] offset:33152                   // 000000009FA8: D89A8180 0000D403
	ds_write_b64 v3, v[214:215] offset:41856                   // 000000009FB0: D89AA380 0000D603
	ds_write_b64 v3, v[216:217] offset:35328                   // 000000009FB8: D89A8A00 0000D803
	ds_write_b64 v3, v[218:219] offset:44032                   // 000000009FC0: D89AAC00 0000DA03
	ds_write_b64 v3, v[220:221] offset:37504                   // 000000009FC8: D89A9280 0000DC03
	ds_write_b64 v3, v[222:223] offset:46208                   // 000000009FD0: D89AB480 0000DE03
	s_waitcnt lgkmcnt(0)                                       // 000000009FD8: BF8CC07F
	s_barrier                                                  // 000000009FDC: BF8A0000
	ds_read_b32 v64, v4 offset:30976                           // 000000009FE0: D86C7900 40000004
	ds_read_b32 v65, v4 offset:35328                           // 000000009FE8: D86C8A00 41000004
	ds_read_b32 v66, v4 offset:31008                           // 000000009FF0: D86C7920 42000004
	ds_read_b32 v67, v4 offset:35360                           // 000000009FF8: D86C8A20 43000004
	ds_read_b32 v68, v4 offset:31040                           // 00000000A000: D86C7940 44000004
	ds_read_b32 v69, v4 offset:35392                           // 00000000A008: D86C8A40 45000004
	ds_read_b32 v70, v4 offset:31072                           // 00000000A010: D86C7960 46000004
	ds_read_b32 v71, v4 offset:35424                           // 00000000A018: D86C8A60 47000004
	ds_read_b32 v72, v4 offset:39680                           // 00000000A020: D86C9B00 48000004
	ds_read_b32 v73, v4 offset:44032                           // 00000000A028: D86CAC00 49000004
	ds_read_b32 v74, v4 offset:39712                           // 00000000A030: D86C9B20 4A000004
	ds_read_b32 v75, v4 offset:44064                           // 00000000A038: D86CAC20 4B000004
	ds_read_b32 v76, v4 offset:39744                           // 00000000A040: D86C9B40 4C000004
	ds_read_b32 v77, v4 offset:44096                           // 00000000A048: D86CAC40 4D000004
	ds_read_b32 v78, v4 offset:39776                           // 00000000A050: D86C9B60 4E000004
	ds_read_b32 v79, v4 offset:44128                           // 00000000A058: D86CAC60 4F000004
	s_waitcnt lgkmcnt(0)                                       // 00000000A060: BF8CC07F
	s_mov_b64 exec, s[20:21]                                   // 00000000A064: BEFE0114
	global_atomic_pk_add_bf16 v80, v64, s[8:9]                 // 00000000A068: DD488000 00084050
	s_mov_b64 exec, s[36:37]                                   // 00000000A070: BEFE0124
	s_mov_b64 exec, s[20:21]                                   // 00000000A074: BEFE0114
	global_atomic_pk_add_bf16 v80, v65, s[8:9] offset:256      // 00000000A078: DD488100 00084150
	s_mov_b64 exec, s[36:37]                                   // 00000000A080: BEFE0124
	s_mov_b64 exec, s[22:23]                                   // 00000000A084: BEFE0116
	global_atomic_pk_add_bf16 v82, v66, s[8:9]                 // 00000000A088: DD488000 00084252
	s_mov_b64 exec, s[36:37]                                   // 00000000A090: BEFE0124
	s_mov_b64 exec, s[22:23]                                   // 00000000A094: BEFE0116
	global_atomic_pk_add_bf16 v82, v67, s[8:9] offset:256      // 00000000A098: DD488100 00084352
	s_mov_b64 exec, s[36:37]                                   // 00000000A0A0: BEFE0124
	s_mov_b64 exec, s[24:25]                                   // 00000000A0A4: BEFE0118
	global_atomic_pk_add_bf16 v84, v68, s[8:9]                 // 00000000A0A8: DD488000 00084454
	s_mov_b64 exec, s[36:37]                                   // 00000000A0B0: BEFE0124
	s_mov_b64 exec, s[24:25]                                   // 00000000A0B4: BEFE0118
	global_atomic_pk_add_bf16 v84, v69, s[8:9] offset:256      // 00000000A0B8: DD488100 00084554
	s_mov_b64 exec, s[36:37]                                   // 00000000A0C0: BEFE0124
	s_mov_b64 exec, s[26:27]                                   // 00000000A0C4: BEFE011A
	global_atomic_pk_add_bf16 v86, v70, s[8:9]                 // 00000000A0C8: DD488000 00084656
	s_mov_b64 exec, s[36:37]                                   // 00000000A0D0: BEFE0124
	s_mov_b64 exec, s[26:27]                                   // 00000000A0D4: BEFE011A
	global_atomic_pk_add_bf16 v86, v71, s[8:9] offset:256      // 00000000A0D8: DD488100 00084756
	s_mov_b64 exec, s[36:37]                                   // 00000000A0E0: BEFE0124
	s_mov_b64 exec, s[28:29]                                   // 00000000A0E4: BEFE011C
	global_atomic_pk_add_bf16 v88, v72, s[8:9]                 // 00000000A0E8: DD488000 00084858
	s_mov_b64 exec, s[36:37]                                   // 00000000A0F0: BEFE0124
	s_mov_b64 exec, s[28:29]                                   // 00000000A0F4: BEFE011C
	global_atomic_pk_add_bf16 v88, v73, s[8:9] offset:256      // 00000000A0F8: DD488100 00084958
	s_mov_b64 exec, s[36:37]                                   // 00000000A100: BEFE0124
	s_mov_b64 exec, s[30:31]                                   // 00000000A104: BEFE011E
	global_atomic_pk_add_bf16 v90, v74, s[8:9]                 // 00000000A108: DD488000 00084A5A
	s_mov_b64 exec, s[36:37]                                   // 00000000A110: BEFE0124
	s_mov_b64 exec, s[30:31]                                   // 00000000A114: BEFE011E
	global_atomic_pk_add_bf16 v90, v75, s[8:9] offset:256      // 00000000A118: DD488100 00084B5A
	s_mov_b64 exec, s[36:37]                                   // 00000000A120: BEFE0124
	s_mov_b64 exec, s[32:33]                                   // 00000000A124: BEFE0120
	global_atomic_pk_add_bf16 v92, v76, s[8:9]                 // 00000000A128: DD488000 00084C5C
	s_mov_b64 exec, s[36:37]                                   // 00000000A130: BEFE0124
	s_mov_b64 exec, s[32:33]                                   // 00000000A134: BEFE0120
	global_atomic_pk_add_bf16 v92, v77, s[8:9] offset:256      // 00000000A138: DD488100 00084D5C
	s_mov_b64 exec, s[36:37]                                   // 00000000A140: BEFE0124
	s_mov_b64 exec, s[34:35]                                   // 00000000A144: BEFE0122
	global_atomic_pk_add_bf16 v94, v78, s[8:9]                 // 00000000A148: DD488000 00084E5E
	s_mov_b64 exec, s[36:37]                                   // 00000000A150: BEFE0124
	s_mov_b64 exec, s[34:35]                                   // 00000000A154: BEFE0122
	global_atomic_pk_add_bf16 v94, v79, s[8:9] offset:256      // 00000000A158: DD488100 00084F5E
	s_mov_b64 exec, s[36:37]                                   // 00000000A160: BEFE0124
	s_add_u32 s8, s59, s8                                      // 00000000A164: 8008083B
	s_addc_u32 s9, 0, s9                                       // 00000000A168: 82090980
	s_addk_i32 s80, 0x100                                      // 00000000A16C: B7500100
	s_cmp_lt_i32 s80, s81                                      // 00000000A170: BF045150
	s_cbranch_scc0 label_1011                                  // 00000000A174: BF84F273
	s_branch label_1794                                        // 00000000A178: BF82F9F5

000000000000a17c <label_1D9F>:
	s_waitcnt vmcnt(0) expcnt(0) lgkmcnt(0)                    // 00000000A17C: BF8C0000
	s_endpgm                                                   // 00000000A180: BF810000
